;; amdgpu-corpus repo=ROCm/rocFFT kind=compiled arch=gfx1201 opt=O3
	.text
	.amdgcn_target "amdgcn-amd-amdhsa--gfx1201"
	.amdhsa_code_object_version 6
	.protected	fft_rtc_back_len1694_factors_11_2_11_7_wgs_154_tpt_154_halfLds_dp_ip_CI_sbrr_dirReg ; -- Begin function fft_rtc_back_len1694_factors_11_2_11_7_wgs_154_tpt_154_halfLds_dp_ip_CI_sbrr_dirReg
	.globl	fft_rtc_back_len1694_factors_11_2_11_7_wgs_154_tpt_154_halfLds_dp_ip_CI_sbrr_dirReg
	.p2align	8
	.type	fft_rtc_back_len1694_factors_11_2_11_7_wgs_154_tpt_154_halfLds_dp_ip_CI_sbrr_dirReg,@function
fft_rtc_back_len1694_factors_11_2_11_7_wgs_154_tpt_154_halfLds_dp_ip_CI_sbrr_dirReg: ; @fft_rtc_back_len1694_factors_11_2_11_7_wgs_154_tpt_154_halfLds_dp_ip_CI_sbrr_dirReg
; %bb.0:
	s_clause 0x2
	s_load_b64 s[12:13], s[0:1], 0x18
	s_load_b128 s[4:7], s[0:1], 0x0
	s_load_b64 s[10:11], s[0:1], 0x50
	v_mul_u32_u24_e32 v1, 0x1aa, v0
	v_mov_b32_e32 v3, 0
	s_delay_alu instid0(VALU_DEP_2) | instskip(NEXT) | instid1(VALU_DEP_1)
	v_lshrrev_b32_e32 v1, 16, v1
	v_add_nc_u32_e32 v5, ttmp9, v1
	v_mov_b32_e32 v1, 0
	v_mov_b32_e32 v2, 0
	;; [unrolled: 1-line block ×3, first 2 shown]
	s_wait_kmcnt 0x0
	s_load_b64 s[8:9], s[12:13], 0x0
	v_cmp_lt_u64_e64 s2, s[6:7], 2
	s_delay_alu instid0(VALU_DEP_1)
	s_and_b32 vcc_lo, exec_lo, s2
	s_cbranch_vccnz .LBB0_8
; %bb.1:
	s_load_b64 s[2:3], s[0:1], 0x10
	v_mov_b32_e32 v1, 0
	v_mov_b32_e32 v2, 0
	s_add_nc_u64 s[14:15], s[12:13], 8
	s_mov_b64 s[16:17], 1
	s_wait_kmcnt 0x0
	s_add_nc_u64 s[18:19], s[2:3], 8
	s_mov_b32 s3, 0
.LBB0_2:                                ; =>This Inner Loop Header: Depth=1
	s_load_b64 s[20:21], s[18:19], 0x0
                                        ; implicit-def: $vgpr7_vgpr8
	s_mov_b32 s2, exec_lo
	s_wait_kmcnt 0x0
	v_or_b32_e32 v4, s21, v6
	s_delay_alu instid0(VALU_DEP_1)
	v_cmpx_ne_u64_e32 0, v[3:4]
	s_wait_alu 0xfffe
	s_xor_b32 s22, exec_lo, s2
	s_cbranch_execz .LBB0_4
; %bb.3:                                ;   in Loop: Header=BB0_2 Depth=1
	s_cvt_f32_u32 s2, s20
	s_cvt_f32_u32 s23, s21
	s_sub_nc_u64 s[26:27], 0, s[20:21]
	s_wait_alu 0xfffe
	s_delay_alu instid0(SALU_CYCLE_1) | instskip(SKIP_1) | instid1(SALU_CYCLE_2)
	s_fmamk_f32 s2, s23, 0x4f800000, s2
	s_wait_alu 0xfffe
	v_s_rcp_f32 s2, s2
	s_delay_alu instid0(TRANS32_DEP_1) | instskip(SKIP_1) | instid1(SALU_CYCLE_2)
	s_mul_f32 s2, s2, 0x5f7ffffc
	s_wait_alu 0xfffe
	s_mul_f32 s23, s2, 0x2f800000
	s_wait_alu 0xfffe
	s_delay_alu instid0(SALU_CYCLE_2) | instskip(SKIP_1) | instid1(SALU_CYCLE_2)
	s_trunc_f32 s23, s23
	s_wait_alu 0xfffe
	s_fmamk_f32 s2, s23, 0xcf800000, s2
	s_cvt_u32_f32 s25, s23
	s_wait_alu 0xfffe
	s_delay_alu instid0(SALU_CYCLE_1) | instskip(SKIP_1) | instid1(SALU_CYCLE_2)
	s_cvt_u32_f32 s24, s2
	s_wait_alu 0xfffe
	s_mul_u64 s[28:29], s[26:27], s[24:25]
	s_wait_alu 0xfffe
	s_mul_hi_u32 s31, s24, s29
	s_mul_i32 s30, s24, s29
	s_mul_hi_u32 s2, s24, s28
	s_mul_i32 s33, s25, s28
	s_wait_alu 0xfffe
	s_add_nc_u64 s[30:31], s[2:3], s[30:31]
	s_mul_hi_u32 s23, s25, s28
	s_mul_hi_u32 s34, s25, s29
	s_add_co_u32 s2, s30, s33
	s_wait_alu 0xfffe
	s_add_co_ci_u32 s2, s31, s23
	s_mul_i32 s28, s25, s29
	s_add_co_ci_u32 s29, s34, 0
	s_wait_alu 0xfffe
	s_add_nc_u64 s[28:29], s[2:3], s[28:29]
	s_wait_alu 0xfffe
	v_add_co_u32 v4, s2, s24, s28
	s_delay_alu instid0(VALU_DEP_1) | instskip(SKIP_1) | instid1(VALU_DEP_1)
	s_cmp_lg_u32 s2, 0
	s_add_co_ci_u32 s25, s25, s29
	v_readfirstlane_b32 s24, v4
	s_wait_alu 0xfffe
	s_delay_alu instid0(VALU_DEP_1)
	s_mul_u64 s[26:27], s[26:27], s[24:25]
	s_wait_alu 0xfffe
	s_mul_hi_u32 s29, s24, s27
	s_mul_i32 s28, s24, s27
	s_mul_hi_u32 s2, s24, s26
	s_mul_i32 s30, s25, s26
	s_wait_alu 0xfffe
	s_add_nc_u64 s[28:29], s[2:3], s[28:29]
	s_mul_hi_u32 s23, s25, s26
	s_mul_hi_u32 s24, s25, s27
	s_wait_alu 0xfffe
	s_add_co_u32 s2, s28, s30
	s_add_co_ci_u32 s2, s29, s23
	s_mul_i32 s26, s25, s27
	s_add_co_ci_u32 s27, s24, 0
	s_wait_alu 0xfffe
	s_add_nc_u64 s[26:27], s[2:3], s[26:27]
	s_wait_alu 0xfffe
	v_add_co_u32 v4, s2, v4, s26
	s_delay_alu instid0(VALU_DEP_1) | instskip(SKIP_1) | instid1(VALU_DEP_1)
	s_cmp_lg_u32 s2, 0
	s_add_co_ci_u32 s2, s25, s27
	v_mul_hi_u32 v13, v5, v4
	s_wait_alu 0xfffe
	v_mad_co_u64_u32 v[7:8], null, v5, s2, 0
	v_mad_co_u64_u32 v[9:10], null, v6, v4, 0
	;; [unrolled: 1-line block ×3, first 2 shown]
	s_delay_alu instid0(VALU_DEP_3) | instskip(SKIP_1) | instid1(VALU_DEP_4)
	v_add_co_u32 v4, vcc_lo, v13, v7
	s_wait_alu 0xfffd
	v_add_co_ci_u32_e32 v7, vcc_lo, 0, v8, vcc_lo
	s_delay_alu instid0(VALU_DEP_2) | instskip(SKIP_1) | instid1(VALU_DEP_2)
	v_add_co_u32 v4, vcc_lo, v4, v9
	s_wait_alu 0xfffd
	v_add_co_ci_u32_e32 v4, vcc_lo, v7, v10, vcc_lo
	s_wait_alu 0xfffd
	v_add_co_ci_u32_e32 v7, vcc_lo, 0, v12, vcc_lo
	s_delay_alu instid0(VALU_DEP_2) | instskip(SKIP_1) | instid1(VALU_DEP_2)
	v_add_co_u32 v4, vcc_lo, v4, v11
	s_wait_alu 0xfffd
	v_add_co_ci_u32_e32 v9, vcc_lo, 0, v7, vcc_lo
	s_delay_alu instid0(VALU_DEP_2) | instskip(SKIP_1) | instid1(VALU_DEP_3)
	v_mul_lo_u32 v10, s21, v4
	v_mad_co_u64_u32 v[7:8], null, s20, v4, 0
	v_mul_lo_u32 v11, s20, v9
	s_delay_alu instid0(VALU_DEP_2) | instskip(NEXT) | instid1(VALU_DEP_2)
	v_sub_co_u32 v7, vcc_lo, v5, v7
	v_add3_u32 v8, v8, v11, v10
	s_delay_alu instid0(VALU_DEP_1) | instskip(SKIP_1) | instid1(VALU_DEP_1)
	v_sub_nc_u32_e32 v10, v6, v8
	s_wait_alu 0xfffd
	v_subrev_co_ci_u32_e64 v10, s2, s21, v10, vcc_lo
	v_add_co_u32 v11, s2, v4, 2
	s_wait_alu 0xf1ff
	v_add_co_ci_u32_e64 v12, s2, 0, v9, s2
	v_sub_co_u32 v13, s2, v7, s20
	v_sub_co_ci_u32_e32 v8, vcc_lo, v6, v8, vcc_lo
	s_wait_alu 0xf1ff
	v_subrev_co_ci_u32_e64 v10, s2, 0, v10, s2
	s_delay_alu instid0(VALU_DEP_3) | instskip(NEXT) | instid1(VALU_DEP_3)
	v_cmp_le_u32_e32 vcc_lo, s20, v13
	v_cmp_eq_u32_e64 s2, s21, v8
	s_wait_alu 0xfffd
	v_cndmask_b32_e64 v13, 0, -1, vcc_lo
	v_cmp_le_u32_e32 vcc_lo, s21, v10
	s_wait_alu 0xfffd
	v_cndmask_b32_e64 v14, 0, -1, vcc_lo
	v_cmp_le_u32_e32 vcc_lo, s20, v7
	;; [unrolled: 3-line block ×3, first 2 shown]
	s_wait_alu 0xfffd
	v_cndmask_b32_e64 v15, 0, -1, vcc_lo
	v_cmp_eq_u32_e32 vcc_lo, s21, v10
	s_wait_alu 0xf1ff
	s_delay_alu instid0(VALU_DEP_2)
	v_cndmask_b32_e64 v7, v15, v7, s2
	s_wait_alu 0xfffd
	v_cndmask_b32_e32 v10, v14, v13, vcc_lo
	v_add_co_u32 v13, vcc_lo, v4, 1
	s_wait_alu 0xfffd
	v_add_co_ci_u32_e32 v14, vcc_lo, 0, v9, vcc_lo
	s_delay_alu instid0(VALU_DEP_3) | instskip(SKIP_2) | instid1(VALU_DEP_3)
	v_cmp_ne_u32_e32 vcc_lo, 0, v10
	s_wait_alu 0xfffd
	v_cndmask_b32_e32 v10, v13, v11, vcc_lo
	v_cndmask_b32_e32 v8, v14, v12, vcc_lo
	v_cmp_ne_u32_e32 vcc_lo, 0, v7
	s_wait_alu 0xfffd
	s_delay_alu instid0(VALU_DEP_2)
	v_dual_cndmask_b32 v7, v4, v10 :: v_dual_cndmask_b32 v8, v9, v8
.LBB0_4:                                ;   in Loop: Header=BB0_2 Depth=1
	s_wait_alu 0xfffe
	s_and_not1_saveexec_b32 s2, s22
	s_cbranch_execz .LBB0_6
; %bb.5:                                ;   in Loop: Header=BB0_2 Depth=1
	v_cvt_f32_u32_e32 v4, s20
	s_sub_co_i32 s22, 0, s20
	s_delay_alu instid0(VALU_DEP_1) | instskip(NEXT) | instid1(TRANS32_DEP_1)
	v_rcp_iflag_f32_e32 v4, v4
	v_mul_f32_e32 v4, 0x4f7ffffe, v4
	s_delay_alu instid0(VALU_DEP_1) | instskip(SKIP_1) | instid1(VALU_DEP_1)
	v_cvt_u32_f32_e32 v4, v4
	s_wait_alu 0xfffe
	v_mul_lo_u32 v7, s22, v4
	s_delay_alu instid0(VALU_DEP_1) | instskip(NEXT) | instid1(VALU_DEP_1)
	v_mul_hi_u32 v7, v4, v7
	v_add_nc_u32_e32 v4, v4, v7
	s_delay_alu instid0(VALU_DEP_1) | instskip(NEXT) | instid1(VALU_DEP_1)
	v_mul_hi_u32 v4, v5, v4
	v_mul_lo_u32 v7, v4, s20
	v_add_nc_u32_e32 v8, 1, v4
	s_delay_alu instid0(VALU_DEP_2) | instskip(NEXT) | instid1(VALU_DEP_1)
	v_sub_nc_u32_e32 v7, v5, v7
	v_subrev_nc_u32_e32 v9, s20, v7
	v_cmp_le_u32_e32 vcc_lo, s20, v7
	s_wait_alu 0xfffd
	s_delay_alu instid0(VALU_DEP_2) | instskip(NEXT) | instid1(VALU_DEP_1)
	v_dual_cndmask_b32 v7, v7, v9 :: v_dual_cndmask_b32 v4, v4, v8
	v_cmp_le_u32_e32 vcc_lo, s20, v7
	s_delay_alu instid0(VALU_DEP_2) | instskip(SKIP_1) | instid1(VALU_DEP_1)
	v_add_nc_u32_e32 v8, 1, v4
	s_wait_alu 0xfffd
	v_dual_cndmask_b32 v7, v4, v8 :: v_dual_mov_b32 v8, v3
.LBB0_6:                                ;   in Loop: Header=BB0_2 Depth=1
	s_wait_alu 0xfffe
	s_or_b32 exec_lo, exec_lo, s2
	s_load_b64 s[22:23], s[14:15], 0x0
	s_delay_alu instid0(VALU_DEP_1)
	v_mul_lo_u32 v4, v8, s20
	v_mul_lo_u32 v11, v7, s21
	v_mad_co_u64_u32 v[9:10], null, v7, s20, 0
	s_add_nc_u64 s[16:17], s[16:17], 1
	s_add_nc_u64 s[14:15], s[14:15], 8
	s_wait_alu 0xfffe
	v_cmp_ge_u64_e64 s2, s[16:17], s[6:7]
	s_add_nc_u64 s[18:19], s[18:19], 8
	s_delay_alu instid0(VALU_DEP_2) | instskip(NEXT) | instid1(VALU_DEP_3)
	v_add3_u32 v4, v10, v11, v4
	v_sub_co_u32 v5, vcc_lo, v5, v9
	s_wait_alu 0xfffd
	s_delay_alu instid0(VALU_DEP_2) | instskip(SKIP_3) | instid1(VALU_DEP_2)
	v_sub_co_ci_u32_e32 v4, vcc_lo, v6, v4, vcc_lo
	s_and_b32 vcc_lo, exec_lo, s2
	s_wait_kmcnt 0x0
	v_mul_lo_u32 v6, s23, v5
	v_mul_lo_u32 v4, s22, v4
	v_mad_co_u64_u32 v[1:2], null, s22, v5, v[1:2]
	s_delay_alu instid0(VALU_DEP_1)
	v_add3_u32 v2, v6, v2, v4
	s_wait_alu 0xfffe
	s_cbranch_vccnz .LBB0_9
; %bb.7:                                ;   in Loop: Header=BB0_2 Depth=1
	v_dual_mov_b32 v5, v7 :: v_dual_mov_b32 v6, v8
	s_branch .LBB0_2
.LBB0_8:
	v_dual_mov_b32 v8, v6 :: v_dual_mov_b32 v7, v5
.LBB0_9:
	s_lshl_b64 s[2:3], s[6:7], 3
	v_mul_hi_u32 v3, 0x1a98ef7, v0
	s_wait_alu 0xfffe
	s_add_nc_u64 s[2:3], s[12:13], s[2:3]
	s_load_b64 s[0:1], s[0:1], 0x20
	s_load_b64 s[2:3], s[2:3], 0x0
                                        ; implicit-def: $vgpr77
	s_delay_alu instid0(VALU_DEP_1) | instskip(NEXT) | instid1(VALU_DEP_1)
	v_mul_u32_u24_e32 v3, 0x9a, v3
	v_sub_nc_u32_e32 v76, v0, v3
	s_delay_alu instid0(VALU_DEP_1)
	v_add_nc_u32_e32 v81, 0x134, v76
	v_add_nc_u32_e32 v82, 0x1ce, v76
	;; [unrolled: 1-line block ×4, first 2 shown]
	s_wait_kmcnt 0x0
	v_cmp_gt_u64_e32 vcc_lo, s[0:1], v[7:8]
	v_mul_lo_u32 v3, s2, v8
	v_mul_lo_u32 v4, s3, v7
	v_mad_co_u64_u32 v[0:1], null, s2, v7, v[1:2]
	v_cmp_le_u64_e64 s0, s[0:1], v[7:8]
	s_delay_alu instid0(VALU_DEP_2) | instskip(NEXT) | instid1(VALU_DEP_2)
	v_add3_u32 v1, v4, v1, v3
	s_and_saveexec_b32 s1, s0
	s_wait_alu 0xfffe
	s_xor_b32 s0, exec_lo, s1
; %bb.10:
	v_add_nc_u32_e32 v77, 0x9a, v76
	v_add_nc_u32_e32 v81, 0x134, v76
	;; [unrolled: 1-line block ×5, first 2 shown]
; %bb.11:
	s_wait_alu 0xfffe
	s_or_saveexec_b32 s1, s0
	v_lshlrev_b64_e32 v[52:53], 4, v[0:1]
                                        ; implicit-def: $vgpr6_vgpr7
                                        ; implicit-def: $vgpr10_vgpr11
                                        ; implicit-def: $vgpr14_vgpr15
                                        ; implicit-def: $vgpr30_vgpr31
                                        ; implicit-def: $vgpr26_vgpr27
                                        ; implicit-def: $vgpr18_vgpr19
                                        ; implicit-def: $vgpr42_vgpr43
                                        ; implicit-def: $vgpr22_vgpr23
                                        ; implicit-def: $vgpr34_vgpr35
                                        ; implicit-def: $vgpr38_vgpr39
                                        ; implicit-def: $vgpr2_vgpr3
	s_wait_alu 0xfffe
	s_xor_b32 exec_lo, exec_lo, s1
	s_cbranch_execz .LBB0_13
; %bb.12:
	v_add_nc_u32_e32 v77, 0x9a, v76
	v_mad_co_u64_u32 v[0:1], null, s8, v76, 0
	v_mad_co_u64_u32 v[4:5], null, s8, v81, 0
	s_delay_alu instid0(VALU_DEP_3)
	v_mad_co_u64_u32 v[2:3], null, s8, v77, 0
	v_add_co_u32 v28, s0, s10, v52
	s_wait_alu 0xf1ff
	v_add_co_ci_u32_e64 v29, s0, s11, v53, s0
	v_add_nc_u32_e32 v17, 0x436, v76
	v_add_nc_u32_e32 v16, 0x39c, v76
	v_mad_co_u64_u32 v[6:7], null, s9, v76, v[1:2]
	v_mad_co_u64_u32 v[7:8], null, s8, v82, 0
	v_mov_b32_e32 v1, v3
	s_delay_alu instid0(VALU_DEP_1) | instskip(NEXT) | instid1(VALU_DEP_3)
	v_mad_co_u64_u32 v[9:10], null, s9, v77, v[1:2]
	v_dual_mov_b32 v1, v6 :: v_dual_mov_b32 v6, v8
	s_delay_alu instid0(VALU_DEP_1) | instskip(NEXT) | instid1(VALU_DEP_2)
	v_lshlrev_b64_e32 v[0:1], 4, v[0:1]
	v_mad_co_u64_u32 v[13:14], null, s9, v82, v[6:7]
	v_mov_b32_e32 v3, v5
	v_mad_co_u64_u32 v[14:15], null, s8, v80, 0
	s_delay_alu instid0(VALU_DEP_4) | instskip(NEXT) | instid1(VALU_DEP_3)
	v_add_co_u32 v0, s0, v28, v0
	v_mad_co_u64_u32 v[10:11], null, s9, v81, v[3:4]
	v_mov_b32_e32 v3, v9
	v_mad_co_u64_u32 v[11:12], null, s8, v83, 0
	s_wait_alu 0xf1ff
	v_add_co_ci_u32_e64 v1, s0, v29, v1, s0
	s_delay_alu instid0(VALU_DEP_3) | instskip(NEXT) | instid1(VALU_DEP_3)
	v_lshlrev_b64_e32 v[2:3], 4, v[2:3]
	v_dual_mov_b32 v5, v10 :: v_dual_mov_b32 v6, v12
	s_delay_alu instid0(VALU_DEP_2) | instskip(SKIP_1) | instid1(VALU_DEP_3)
	v_add_co_u32 v8, s0, v28, v2
	s_wait_alu 0xf1ff
	v_add_co_ci_u32_e64 v9, s0, v29, v3, s0
	s_clause 0x1
	global_load_b128 v[0:3], v[0:1], off
	global_load_b128 v[36:39], v[8:9], off
	v_mov_b32_e32 v8, v13
	v_mad_co_u64_u32 v[9:10], null, s9, v83, v[6:7]
	v_mov_b32_e32 v6, v15
	v_lshlrev_b64_e32 v[4:5], 4, v[4:5]
	s_delay_alu instid0(VALU_DEP_4) | instskip(NEXT) | instid1(VALU_DEP_4)
	v_lshlrev_b64_e32 v[7:8], 4, v[7:8]
	v_mov_b32_e32 v12, v9
	s_delay_alu instid0(VALU_DEP_3) | instskip(NEXT) | instid1(VALU_DEP_3)
	v_add_co_u32 v4, s0, v28, v4
	v_mad_co_u64_u32 v[9:10], null, s9, v80, v[6:7]
	s_delay_alu instid0(VALU_DEP_3)
	v_lshlrev_b64_e32 v[10:11], 4, v[11:12]
	v_mad_co_u64_u32 v[12:13], null, s8, v16, 0
	s_wait_alu 0xf1ff
	v_add_co_ci_u32_e64 v5, s0, v29, v5, s0
	v_add_co_u32 v6, s0, v28, v7
	v_mov_b32_e32 v15, v9
	s_wait_alu 0xf1ff
	v_add_co_ci_u32_e64 v7, s0, v29, v8, s0
	s_clause 0x1
	global_load_b128 v[32:35], v[4:5], off
	global_load_b128 v[20:23], v[6:7], off
	v_mov_b32_e32 v6, v13
	v_lshlrev_b64_e32 v[7:8], 4, v[14:15]
	v_add_co_u32 v4, s0, v28, v10
	s_wait_alu 0xf1ff
	v_add_co_ci_u32_e64 v5, s0, v29, v11, s0
	s_delay_alu instid0(VALU_DEP_3)
	v_mad_co_u64_u32 v[9:10], null, s9, v16, v[6:7]
	v_add_nc_u32_e32 v18, 0x4d0, v76
	v_mad_co_u64_u32 v[10:11], null, s8, v17, 0
	v_add_co_u32 v6, s0, v28, v7
	s_wait_alu 0xf1ff
	v_add_co_ci_u32_e64 v7, s0, v29, v8, s0
	v_mov_b32_e32 v13, v9
	v_mad_co_u64_u32 v[14:15], null, s8, v18, 0
	v_add_nc_u32_e32 v30, 0x56a, v76
	s_delay_alu instid0(VALU_DEP_2) | instskip(NEXT) | instid1(VALU_DEP_2)
	v_dual_mov_b32 v8, v11 :: v_dual_mov_b32 v9, v15
	v_mad_co_u64_u32 v[24:25], null, s8, v30, 0
	v_add_nc_u32_e32 v31, 0x604, v76
	s_delay_alu instid0(VALU_DEP_3)
	v_mad_co_u64_u32 v[15:16], null, s9, v17, v[8:9]
	v_mad_co_u64_u32 v[8:9], null, s9, v18, v[9:10]
	s_clause 0x1
	global_load_b128 v[40:43], v[4:5], off
	global_load_b128 v[16:19], v[6:7], off
	v_mov_b32_e32 v4, v25
	v_mad_co_u64_u32 v[26:27], null, s8, v31, 0
	v_lshlrev_b64_e32 v[5:6], 4, v[12:13]
	v_mov_b32_e32 v11, v15
	v_mov_b32_e32 v15, v8
	s_delay_alu instid0(VALU_DEP_3)
	v_mad_co_u64_u32 v[7:8], null, s9, v30, v[4:5]
	v_mov_b32_e32 v4, v27
	v_add_co_u32 v5, s0, v28, v5
	v_lshlrev_b64_e32 v[8:9], 4, v[10:11]
	s_wait_alu 0xf1ff
	v_add_co_ci_u32_e64 v6, s0, v29, v6, s0
	s_delay_alu instid0(VALU_DEP_3)
	v_mad_co_u64_u32 v[10:11], null, s9, v31, v[4:5]
	v_lshlrev_b64_e32 v[11:12], 4, v[14:15]
	v_mov_b32_e32 v25, v7
	v_add_co_u32 v7, s0, v28, v8
	s_wait_alu 0xf1ff
	v_add_co_ci_u32_e64 v8, s0, v29, v9, s0
	v_mov_b32_e32 v27, v10
	v_lshlrev_b64_e32 v[13:14], 4, v[24:25]
	v_add_co_u32 v9, s0, v28, v11
	s_wait_alu 0xf1ff
	v_add_co_ci_u32_e64 v10, s0, v29, v12, s0
	v_lshlrev_b64_e32 v[11:12], 4, v[26:27]
	s_delay_alu instid0(VALU_DEP_4) | instskip(SKIP_2) | instid1(VALU_DEP_3)
	v_add_co_u32 v44, s0, v28, v13
	s_wait_alu 0xf1ff
	v_add_co_ci_u32_e64 v45, s0, v29, v14, s0
	v_add_co_u32 v46, s0, v28, v11
	s_wait_alu 0xf1ff
	v_add_co_ci_u32_e64 v47, s0, v29, v12, s0
	s_clause 0x4
	global_load_b128 v[24:27], v[5:6], off
	global_load_b128 v[28:31], v[7:8], off
	;; [unrolled: 1-line block ×5, first 2 shown]
.LBB0_13:
	s_or_b32 exec_lo, exec_lo, s1
	s_wait_loadcnt 0x9
	v_add_f64_e32 v[44:45], v[36:37], v[0:1]
	s_wait_loadcnt 0x0
	v_add_f64_e64 v[46:47], v[38:39], -v[6:7]
	s_mov_b32 s28, 0xf8bb580b
	s_mov_b32 s36, 0x8eee2c13
	;; [unrolled: 1-line block ×9, first 2 shown]
	v_add_f64_e64 v[48:49], v[34:35], -v[10:11]
	v_add_f64_e32 v[50:51], v[4:5], v[36:37]
	s_mov_b32 s19, 0xbfefac9e
	s_mov_b32 s12, 0x8764f0ba
	;; [unrolled: 1-line block ×11, first 2 shown]
	s_wait_alu 0xfffe
	s_mov_b32 s34, s22
	s_mov_b32 s30, s18
	;; [unrolled: 1-line block ×5, first 2 shown]
	v_add_f64_e32 v[62:63], v[8:9], v[32:33]
	v_add_f64_e64 v[64:65], v[22:23], -v[14:15]
	s_mov_b32 s3, 0xbfc2375f
	s_mov_b32 s27, 0x3fed1bb4
	;; [unrolled: 1-line block ×3, first 2 shown]
	v_add_f64_e64 v[90:91], v[42:43], -v[30:31]
	v_cmp_gt_u32_e64 s0, 0x4d, v76
	v_add_f64_e32 v[44:45], v[32:33], v[44:45]
	v_mul_f64_e32 v[54:55], s[28:29], v[46:47]
	v_mul_f64_e32 v[56:57], s[36:37], v[46:47]
	;; [unrolled: 1-line block ×9, first 2 shown]
	s_wait_alu 0xfffe
	v_mul_f64_e32 v[48:49], s[24:25], v[48:49]
	v_mul_f64_e32 v[92:93], s[18:19], v[64:65]
	;; [unrolled: 1-line block ×9, first 2 shown]
	v_add_f64_e32 v[44:45], v[20:21], v[44:45]
	v_fma_f64 v[74:75], v[50:51], s[12:13], v[54:55]
	v_fma_f64 v[54:55], v[50:51], s[12:13], -v[54:55]
	v_fma_f64 v[78:79], v[50:51], s[6:7], -v[56:57]
	v_fma_f64 v[84:85], v[50:51], s[14:15], v[58:59]
	v_fma_f64 v[86:87], v[50:51], s[16:17], v[60:61]
	v_fma_f64 v[58:59], v[50:51], s[14:15], -v[58:59]
	v_fma_f64 v[60:61], v[50:51], s[16:17], -v[60:61]
	;; [unrolled: 1-line block ×3, first 2 shown]
	v_fma_f64 v[56:57], v[50:51], s[6:7], v[56:57]
	v_fma_f64 v[46:47], v[50:51], s[2:3], v[46:47]
	v_add_f64_e32 v[50:51], v[12:13], v[20:21]
	v_fma_f64 v[100:101], v[62:63], s[6:7], v[66:67]
	v_fma_f64 v[66:67], v[62:63], s[6:7], -v[66:67]
	v_fma_f64 v[102:103], v[62:63], s[14:15], v[68:69]
	v_fma_f64 v[68:69], v[62:63], s[14:15], -v[68:69]
	;; [unrolled: 2-line block ×5, first 2 shown]
	v_mul_f64_e32 v[116:117], s[22:23], v[90:91]
	v_mul_f64_e32 v[90:91], s[26:27], v[90:91]
	v_add_f64_e32 v[44:45], v[40:41], v[44:45]
	v_add_f64_e32 v[62:63], v[0:1], v[74:75]
	;; [unrolled: 1-line block ×12, first 2 shown]
	v_add_f64_e64 v[88:89], v[18:19], -v[26:27]
	v_fma_f64 v[118:119], v[50:51], s[2:3], v[92:93]
	v_fma_f64 v[92:93], v[50:51], s[2:3], -v[92:93]
	v_fma_f64 v[120:121], v[50:51], s[16:17], v[94:95]
	v_fma_f64 v[94:95], v[50:51], s[16:17], -v[94:95]
	;; [unrolled: 2-line block ×5, first 2 shown]
	v_add_f64_e32 v[44:45], v[16:17], v[44:45]
	v_add_f64_e32 v[62:63], v[100:101], v[62:63]
	;; [unrolled: 1-line block ×12, first 2 shown]
	v_mul_f64_e32 v[72:73], s[22:23], v[88:89]
	v_mul_f64_e32 v[74:75], s[24:25], v[88:89]
	;; [unrolled: 1-line block ×5, first 2 shown]
	v_fma_f64 v[88:89], v[46:47], s[14:15], v[110:111]
	v_fma_f64 v[100:101], v[46:47], s[14:15], -v[110:111]
	v_fma_f64 v[104:105], v[46:47], s[2:3], -v[112:113]
	v_fma_f64 v[106:107], v[46:47], s[12:13], v[114:115]
	v_fma_f64 v[108:109], v[46:47], s[12:13], -v[114:115]
	v_fma_f64 v[110:111], v[46:47], s[16:17], v[116:117]
	v_fma_f64 v[114:115], v[46:47], s[6:7], v[90:91]
	;; [unrolled: 1-line block ×3, first 2 shown]
	v_fma_f64 v[112:113], v[46:47], s[16:17], -v[116:117]
	v_fma_f64 v[46:47], v[46:47], s[6:7], -v[90:91]
	v_add_f64_e32 v[44:45], v[24:25], v[44:45]
	v_add_f64_e32 v[62:63], v[118:119], v[62:63]
	;; [unrolled: 1-line block ×11, first 2 shown]
	v_fma_f64 v[60:61], v[70:71], s[16:17], v[72:73]
	v_fma_f64 v[72:73], v[70:71], s[16:17], -v[72:73]
	v_fma_f64 v[90:91], v[70:71], s[12:13], v[74:75]
	v_fma_f64 v[74:75], v[70:71], s[12:13], -v[74:75]
	v_fma_f64 v[94:95], v[70:71], s[6:7], v[84:85]
	v_fma_f64 v[96:97], v[70:71], s[2:3], v[86:87]
	;; [unrolled: 1-line block ×3, first 2 shown]
	v_fma_f64 v[78:79], v[70:71], s[14:15], -v[78:79]
	v_fma_f64 v[84:85], v[70:71], s[6:7], -v[84:85]
	;; [unrolled: 1-line block ×3, first 2 shown]
	v_lshl_add_u32 v86, v82, 3, 0
	v_lshl_add_u32 v87, v83, 3, 0
	v_add_f64_e32 v[44:45], v[28:29], v[44:45]
	v_add_f64_e32 v[62:63], v[88:89], v[62:63]
	;; [unrolled: 1-line block ×22, first 2 shown]
	v_mad_u32_u24 v68, 0x58, v76, 0
	v_lshl_add_u32 v78, v77, 3, 0
	v_lshl_add_u32 v85, v81, 3, 0
	;; [unrolled: 1-line block ×3, first 2 shown]
	s_delay_alu instid0(VALU_DEP_4) | instskip(NEXT) | instid1(VALU_DEP_1)
	v_mad_i32_i24 v69, 0xffffffb0, v76, v68
	v_add_nc_u32_e32 v66, 0x1800, v69
	v_add_nc_u32_e32 v67, 0x2400, v69
	v_add_f64_e32 v[44:45], v[8:9], v[44:45]
	s_delay_alu instid0(VALU_DEP_1)
	v_add_f64_e32 v[44:45], v[4:5], v[44:45]
	ds_store_2addr_b64 v68, v[62:63], v[64:65] offset0:4 offset1:5
	ds_store_2addr_b64 v68, v[46:47], v[58:59] offset0:6 offset1:7
	;; [unrolled: 1-line block ×3, first 2 shown]
	ds_store_b64 v68, v[0:1] offset:80
	ds_store_2addr_b64 v68, v[44:45], v[60:61] offset1:1
	ds_store_2addr_b64 v68, v[50:51], v[56:57] offset0:2 offset1:3
	global_wb scope:SCOPE_SE
	s_wait_dscnt 0x0
	s_barrier_signal -1
	s_barrier_wait -1
	global_inv scope:SCOPE_SE
	ds_load_2addr_b64 v[48:51], v66 offset0:79 offset1:233
	ds_load_2addr_b64 v[44:47], v67 offset0:3 offset1:157
	ds_load_b64 v[58:59], v78
	ds_load_b64 v[60:61], v85
	;; [unrolled: 1-line block ×5, first 2 shown]
	ds_load_b64 v[54:55], v69 offset:11704
	v_mul_i32_i24_e32 v56, 0xffffffb0, v76
	s_delay_alu instid0(VALU_DEP_1)
	v_add_nc_u32_e32 v79, v68, v56
                                        ; implicit-def: $vgpr56_vgpr57
	s_and_saveexec_b32 s1, s0
	s_cbranch_execz .LBB0_15
; %bb.14:
	ds_load_b64 v[0:1], v84
	ds_load_b64 v[56:57], v79 offset:12936
.LBB0_15:
	s_wait_alu 0xfffe
	s_or_b32 exec_lo, exec_lo, s1
	v_add_f64_e32 v[69:70], v[38:39], v[2:3]
	v_add_f64_e64 v[4:5], v[36:37], -v[4:5]
	v_add_f64_e64 v[8:9], v[32:33], -v[8:9]
	v_add_f64_e32 v[32:33], v[6:7], v[38:39]
	v_add_f64_e64 v[12:13], v[20:21], -v[12:13]
	v_add_f64_e32 v[20:21], v[10:11], v[34:35]
	v_add_f64_e64 v[28:29], v[40:41], -v[28:29]
	v_add_f64_e64 v[16:17], v[16:17], -v[24:25]
	global_wb scope:SCOPE_SE
	s_wait_dscnt 0x0
	s_barrier_signal -1
	s_barrier_wait -1
	global_inv scope:SCOPE_SE
	v_add_f64_e32 v[69:70], v[34:35], v[69:70]
	v_mul_f64_e32 v[38:39], s[28:29], v[4:5]
	v_mul_f64_e32 v[71:72], s[20:21], v[4:5]
	;; [unrolled: 1-line block ×13, first 2 shown]
	v_add_f64_e32 v[36:37], v[22:23], v[69:70]
	v_mul_f64_e32 v[69:70], s[36:37], v[4:5]
	v_mul_f64_e32 v[4:5], s[18:19], v[4:5]
	v_fma_f64 v[94:95], v[32:33], s[12:13], -v[38:39]
	v_fma_f64 v[38:39], v[32:33], s[12:13], v[38:39]
	v_fma_f64 v[98:99], v[32:33], s[14:15], -v[71:72]
	v_fma_f64 v[100:101], v[32:33], s[16:17], -v[73:74]
	v_fma_f64 v[71:72], v[32:33], s[14:15], v[71:72]
	v_fma_f64 v[73:74], v[32:33], s[16:17], v[73:74]
	v_add_f64_e32 v[22:23], v[14:15], v[22:23]
	v_fma_f64 v[108:109], v[20:21], s[6:7], -v[34:35]
	v_fma_f64 v[34:35], v[20:21], s[6:7], v[34:35]
	v_fma_f64 v[110:111], v[20:21], s[14:15], -v[88:89]
	v_fma_f64 v[88:89], v[20:21], s[14:15], v[88:89]
	v_fma_f64 v[112:113], v[20:21], s[16:17], -v[90:91]
	v_fma_f64 v[90:91], v[20:21], s[16:17], v[90:91]
	v_fma_f64 v[114:115], v[20:21], s[2:3], -v[92:93]
	v_fma_f64 v[92:93], v[20:21], s[2:3], v[92:93]
	v_fma_f64 v[116:117], v[20:21], s[12:13], -v[8:9]
	v_fma_f64 v[8:9], v[20:21], s[12:13], v[8:9]
	v_add_f64_e32 v[36:37], v[42:43], v[36:37]
	v_fma_f64 v[96:97], v[32:33], s[6:7], v[69:70]
	v_fma_f64 v[102:103], v[32:33], s[2:3], v[4:5]
	v_fma_f64 v[69:70], v[32:33], s[6:7], -v[69:70]
	v_fma_f64 v[4:5], v[32:33], s[2:3], -v[4:5]
	v_add_f64_e32 v[20:21], v[2:3], v[94:95]
	v_add_f64_e32 v[38:39], v[2:3], v[38:39]
	;; [unrolled: 1-line block ×4, first 2 shown]
	v_fma_f64 v[122:123], v[22:23], s[16:17], -v[40:41]
	v_fma_f64 v[40:41], v[22:23], s[16:17], v[40:41]
	v_fma_f64 v[124:125], v[22:23], s[6:7], -v[104:105]
	v_fma_f64 v[104:105], v[22:23], s[6:7], v[104:105]
	;; [unrolled: 2-line block ×3, first 2 shown]
	v_add_f64_e32 v[32:33], v[18:19], v[36:37]
	v_mul_f64_e32 v[36:37], s[18:19], v[12:13]
	v_mul_f64_e32 v[12:13], s[20:21], v[12:13]
	v_add_f64_e32 v[94:95], v[2:3], v[96:97]
	v_add_f64_e32 v[96:97], v[2:3], v[98:99]
	;; [unrolled: 1-line block ×6, first 2 shown]
	v_mul_f64_e32 v[102:103], s[28:29], v[28:29]
	v_add_f64_e32 v[20:21], v[108:109], v[20:21]
	v_add_f64_e32 v[71:72], v[92:93], v[71:72]
	;; [unrolled: 1-line block ×4, first 2 shown]
	v_mul_f64_e32 v[92:93], s[26:27], v[16:17]
	v_add_f64_e32 v[4:5], v[26:27], v[32:33]
	v_add_f64_e32 v[32:33], v[30:31], v[42:43]
	v_mul_f64_e32 v[42:43], s[30:31], v[28:29]
	v_mul_f64_e32 v[28:29], s[26:27], v[28:29]
	v_fma_f64 v[120:121], v[22:23], s[2:3], -v[36:37]
	v_fma_f64 v[36:37], v[22:23], s[2:3], v[36:37]
	v_fma_f64 v[128:129], v[22:23], s[14:15], -v[12:13]
	v_fma_f64 v[12:13], v[22:23], s[14:15], v[12:13]
	v_add_f64_e32 v[22:23], v[34:35], v[38:39]
	v_add_f64_e32 v[34:35], v[88:89], v[94:95]
	;; [unrolled: 1-line block ×7, first 2 shown]
	v_mul_f64_e32 v[26:27], s[22:23], v[16:17]
	v_mul_f64_e32 v[90:91], s[20:21], v[16:17]
	v_add_f64_e32 v[4:5], v[30:31], v[4:5]
	v_mul_f64_e32 v[30:31], s[24:25], v[16:17]
	v_mul_f64_e32 v[16:17], s[18:19], v[16:17]
	v_fma_f64 v[94:95], v[32:33], s[14:15], -v[24:25]
	v_fma_f64 v[24:25], v[32:33], s[14:15], v[24:25]
	v_fma_f64 v[96:97], v[32:33], s[2:3], -v[42:43]
	v_fma_f64 v[42:43], v[32:33], s[2:3], v[42:43]
	;; [unrolled: 2-line block ×5, first 2 shown]
	v_add_f64_e32 v[20:21], v[120:121], v[20:21]
	v_add_f64_e32 v[22:23], v[36:37], v[22:23]
	;; [unrolled: 1-line block ×10, first 2 shown]
	v_fma_f64 v[71:72], v[18:19], s[14:15], -v[90:91]
	v_fma_f64 v[73:74], v[18:19], s[14:15], v[90:91]
	v_fma_f64 v[88:89], v[18:19], s[6:7], -v[92:93]
	v_fma_f64 v[90:91], v[18:19], s[6:7], v[92:93]
	v_add_f64_e32 v[4:5], v[14:15], v[4:5]
	v_fma_f64 v[14:15], v[18:19], s[16:17], -v[26:27]
	v_fma_f64 v[26:27], v[18:19], s[16:17], v[26:27]
	v_fma_f64 v[69:70], v[18:19], s[12:13], -v[30:31]
	v_fma_f64 v[30:31], v[18:19], s[12:13], v[30:31]
	;; [unrolled: 2-line block ×3, first 2 shown]
	v_add_f64_e32 v[18:19], v[94:95], v[20:21]
	v_add_f64_e32 v[20:21], v[24:25], v[22:23]
	;; [unrolled: 1-line block ×21, first 2 shown]
                                        ; implicit-def: $vgpr72_vgpr73
	v_add_f64_e32 v[4:5], v[6:7], v[4:5]
	v_add_nc_u32_e32 v6, 0x1800, v79
	v_add_nc_u32_e32 v7, 0x2400, v79
	ds_store_2addr_b64 v68, v[18:19], v[22:23] offset0:4 offset1:5
	ds_store_2addr_b64 v68, v[8:9], v[20:21] offset0:6 offset1:7
	;; [unrolled: 1-line block ×3, first 2 shown]
	ds_store_b64 v68, v[36:37] offset:80
	ds_store_2addr_b64 v68, v[16:17], v[2:3] offset0:2 offset1:3
	ds_store_2addr_b64 v68, v[4:5], v[10:11] offset1:1
	global_wb scope:SCOPE_SE
	s_wait_dscnt 0x0
	s_barrier_signal -1
	s_barrier_wait -1
	global_inv scope:SCOPE_SE
	ds_load_2addr_b64 v[8:11], v6 offset0:79 offset1:233
	ds_load_2addr_b64 v[4:7], v7 offset0:3 offset1:157
	ds_load_b64 v[38:39], v78
	ds_load_b64 v[40:41], v85
	;; [unrolled: 1-line block ×5, first 2 shown]
	ds_load_b64 v[74:75], v79 offset:11704
	s_and_saveexec_b32 s1, s0
	s_cbranch_execz .LBB0_17
; %bb.16:
	ds_load_b64 v[36:37], v84
	ds_load_b64 v[72:73], v79 offset:12936
.LBB0_17:
	s_wait_alu 0xfffe
	s_or_b32 exec_lo, exec_lo, s1
	v_and_b32_e32 v2, 0xff, v76
	v_and_b32_e32 v12, 0xffff, v77
	;; [unrolled: 1-line block ×5, first 2 shown]
	v_mul_lo_u16 v2, 0x75, v2
	s_delay_alu instid0(VALU_DEP_1) | instskip(NEXT) | instid1(VALU_DEP_1)
	v_lshrrev_b16 v2, 8, v2
	v_sub_nc_u16 v3, v76, v2
	s_delay_alu instid0(VALU_DEP_1) | instskip(NEXT) | instid1(VALU_DEP_1)
	v_lshrrev_b16 v3, 1, v3
	v_and_b32_e32 v3, 0x7f, v3
	s_delay_alu instid0(VALU_DEP_1)
	v_add_nc_u16 v2, v3, v2
	v_mul_u32_u24_e32 v3, 0xba2f, v12
	v_mul_u32_u24_e32 v12, 0xba2f, v13
	;; [unrolled: 1-line block ×4, first 2 shown]
	v_lshrrev_b16 v102, 3, v2
	v_lshrrev_b32_e32 v103, 19, v3
	v_lshrrev_b32_e32 v104, 19, v12
	;; [unrolled: 1-line block ×4, first 2 shown]
	v_mul_lo_u16 v2, v102, 11
	v_mul_lo_u16 v3, v103, 11
	;; [unrolled: 1-line block ×5, first 2 shown]
	v_sub_nc_u16 v2, v76, v2
	v_sub_nc_u16 v3, v77, v3
	;; [unrolled: 1-line block ×5, first 2 shown]
	v_and_b32_e32 v107, 0xff, v2
	v_and_b32_e32 v108, 0xffff, v3
	;; [unrolled: 1-line block ×5, first 2 shown]
	v_lshlrev_b32_e32 v2, 4, v107
	v_lshlrev_b32_e32 v3, 4, v108
	;; [unrolled: 1-line block ×5, first 2 shown]
	s_clause 0x4
	global_load_b128 v[12:15], v2, s[4:5]
	global_load_b128 v[16:19], v3, s[4:5]
	;; [unrolled: 1-line block ×5, first 2 shown]
	v_and_b32_e32 v2, 0xffff, v80
	s_delay_alu instid0(VALU_DEP_1) | instskip(NEXT) | instid1(VALU_DEP_1)
	v_mul_u32_u24_e32 v2, 0xba2f, v2
	v_lshrrev_b32_e32 v112, 19, v2
	s_delay_alu instid0(VALU_DEP_1) | instskip(NEXT) | instid1(VALU_DEP_1)
	v_mul_lo_u16 v2, v112, 11
	v_sub_nc_u16 v2, v80, v2
	s_delay_alu instid0(VALU_DEP_1) | instskip(NEXT) | instid1(VALU_DEP_1)
	v_and_b32_e32 v113, 0xffff, v2
	v_lshlrev_b32_e32 v2, 4, v113
	global_load_b128 v[32:35], v2, s[4:5]
	global_wb scope:SCOPE_SE
	s_wait_loadcnt_dscnt 0x0
	s_barrier_signal -1
	s_barrier_wait -1
	global_inv scope:SCOPE_SE
	v_mul_f64_e32 v[2:3], v[8:9], v[14:15]
	v_mul_f64_e32 v[80:81], v[10:11], v[18:19]
	;; [unrolled: 1-line block ×5, first 2 shown]
	v_fma_f64 v[2:3], v[48:49], v[12:13], v[2:3]
	v_fma_f64 v[80:81], v[50:51], v[16:17], v[80:81]
	v_mul_f64_e32 v[92:93], v[72:73], v[34:35]
	v_fma_f64 v[82:83], v[44:45], v[20:21], v[82:83]
	v_fma_f64 v[88:89], v[46:47], v[24:25], v[88:89]
	;; [unrolled: 1-line block ×3, first 2 shown]
	v_add_f64_e64 v[94:95], v[66:67], -v[2:3]
	v_add_f64_e64 v[80:81], v[58:59], -v[80:81]
	v_fma_f64 v[2:3], v[56:57], v[32:33], v[92:93]
	v_add_f64_e64 v[82:83], v[60:61], -v[82:83]
	v_add_f64_e64 v[88:89], v[62:63], -v[88:89]
	;; [unrolled: 1-line block ×3, first 2 shown]
	v_fma_f64 v[66:67], v[66:67], 2.0, -v[94:95]
	v_fma_f64 v[92:93], v[58:59], 2.0, -v[80:81]
	v_add_f64_e64 v[2:3], v[0:1], -v[2:3]
	v_fma_f64 v[96:97], v[60:61], 2.0, -v[82:83]
	v_fma_f64 v[98:99], v[62:63], 2.0, -v[88:89]
	v_fma_f64 v[100:101], v[64:65], 2.0, -v[90:91]
	v_and_b32_e32 v65, 0xffff, v102
	v_mul_u32_u24_e32 v60, 0xb0, v103
	v_mul_u32_u24_e32 v61, 0xb0, v104
	;; [unrolled: 1-line block ×4, first 2 shown]
	v_lshlrev_b32_e32 v64, 3, v108
	v_lshlrev_b32_e32 v102, 3, v109
	;; [unrolled: 1-line block ×4, first 2 shown]
	v_mul_u32_u24_e32 v65, 0xb0, v65
	v_lshlrev_b32_e32 v105, 3, v107
	v_mul_lo_u16 v58, v112, 22
	v_lshlrev_b32_e32 v59, 3, v113
	v_add3_u32 v60, 0, v60, v64
	v_add3_u32 v61, 0, v61, v102
	;; [unrolled: 1-line block ×5, first 2 shown]
	ds_store_2addr_b64 v64, v[66:67], v[94:95] offset1:11
	ds_store_2addr_b64 v60, v[92:93], v[80:81] offset1:11
	;; [unrolled: 1-line block ×5, first 2 shown]
	s_and_saveexec_b32 s1, s0
	s_cbranch_execz .LBB0_19
; %bb.18:
	v_fma_f64 v[0:1], v[0:1], 2.0, -v[2:3]
	v_and_b32_e32 v65, 0xffff, v58
	s_delay_alu instid0(VALU_DEP_1) | instskip(NEXT) | instid1(VALU_DEP_1)
	v_lshlrev_b32_e32 v65, 3, v65
	v_add3_u32 v65, 0, v59, v65
	ds_store_2addr_b64 v65, v[0:1], v[2:3] offset1:11
.LBB0_19:
	s_wait_alu 0xfffe
	s_or_b32 exec_lo, exec_lo, s1
	v_mul_f64_e32 v[0:1], v[48:49], v[14:15]
	v_mul_f64_e32 v[14:15], v[50:51], v[18:19]
	;; [unrolled: 1-line block ×5, first 2 shown]
	global_wb scope:SCOPE_SE
	s_wait_dscnt 0x0
	s_barrier_signal -1
	s_barrier_wait -1
	global_inv scope:SCOPE_SE
	v_add_nc_u32_e32 v30, 0x1c00, v79
	v_fma_f64 v[0:1], v[8:9], v[12:13], -v[0:1]
	v_mul_f64_e32 v[12:13], v[56:57], v[34:35]
	v_fma_f64 v[8:9], v[10:11], v[16:17], -v[14:15]
	v_fma_f64 v[4:5], v[4:5], v[20:21], -v[18:19]
	;; [unrolled: 1-line block ×4, first 2 shown]
	v_add_nc_u32_e32 v26, 0x2400, v79
	v_add_f64_e64 v[27:28], v[70:71], -v[0:1]
	v_fma_f64 v[0:1], v[72:73], v[32:33], -v[12:13]
	v_add_f64_e64 v[34:35], v[38:39], -v[8:9]
	v_add_f64_e64 v[44:45], v[40:41], -v[4:5]
	;; [unrolled: 1-line block ×4, first 2 shown]
	v_fma_f64 v[31:32], v[70:71], 2.0, -v[27:28]
	v_add_f64_e64 v[6:7], v[36:37], -v[0:1]
	v_fma_f64 v[38:39], v[38:39], 2.0, -v[34:35]
	v_fma_f64 v[40:41], v[40:41], 2.0, -v[44:45]
	;; [unrolled: 1-line block ×4, first 2 shown]
	ds_load_b64 v[0:1], v79
	ds_load_b64 v[24:25], v78
	;; [unrolled: 1-line block ×6, first 2 shown]
	ds_load_b64 v[18:19], v79 offset:12320
	ds_load_2addr_b64 v[8:11], v30 offset0:28 offset1:182
	ds_load_2addr_b64 v[12:15], v26 offset0:80 offset1:234
	global_wb scope:SCOPE_SE
	s_wait_dscnt 0x0
	s_barrier_signal -1
	s_barrier_wait -1
	global_inv scope:SCOPE_SE
	ds_store_2addr_b64 v64, v[31:32], v[27:28] offset1:11
	ds_store_2addr_b64 v60, v[38:39], v[34:35] offset1:11
	;; [unrolled: 1-line block ×5, first 2 shown]
	s_and_saveexec_b32 s1, s0
	s_cbranch_execz .LBB0_21
; %bb.20:
	v_fma_f64 v[27:28], v[36:37], 2.0, -v[6:7]
	v_and_b32_e32 v29, 0xffff, v58
	s_delay_alu instid0(VALU_DEP_1) | instskip(NEXT) | instid1(VALU_DEP_1)
	v_lshlrev_b32_e32 v29, 3, v29
	v_add3_u32 v29, 0, v59, v29
	ds_store_2addr_b64 v29, v[27:28], v[6:7] offset1:11
.LBB0_21:
	s_wait_alu 0xfffe
	s_or_b32 exec_lo, exec_lo, s1
	v_lshrrev_b16 v27, 1, v76
	global_wb scope:SCOPE_SE
	s_wait_dscnt 0x0
	s_barrier_signal -1
	s_barrier_wait -1
	global_inv scope:SCOPE_SE
	v_and_b32_e32 v27, 0x7f, v27
	s_mov_b32 s12, 0x8eee2c13
	s_mov_b32 s6, 0x43842ef
	;; [unrolled: 1-line block ×4, first 2 shown]
	v_mul_lo_u16 v27, 0xbb, v27
	s_mov_b32 s7, 0xbfefac9e
	s_mov_b32 s14, 0xbb3a28a1
	;; [unrolled: 1-line block ×4, first 2 shown]
	v_lshrrev_b16 v28, 11, v27
	s_mov_b32 s15, 0xbfe82f19
	s_mov_b32 s17, 0xbfd207e7
	;; [unrolled: 1-line block ×4, first 2 shown]
	v_mul_lo_u16 v27, v28, 22
	s_mov_b32 s24, 0x8764f0ba
	s_mov_b32 s23, 0x3fda9628
	;; [unrolled: 1-line block ×4, first 2 shown]
	v_sub_nc_u16 v27, v76, v27
	s_mov_b32 s19, 0x3fd207e7
	s_mov_b32 s29, 0x3fefac9e
	;; [unrolled: 1-line block ×3, first 2 shown]
	s_wait_alu 0xfffe
	s_mov_b32 s18, s16
	v_and_b32_e32 v29, 0xff, v27
	s_mov_b32 s28, s6
	s_mov_b32 s30, s2
	;; [unrolled: 1-line block ×4, first 2 shown]
	v_mul_u32_u24_e32 v27, 10, v29
	s_mov_b32 s27, 0xbfe4f49e
	s_mov_b32 s37, 0xbfeeb42a
	;; [unrolled: 1-line block ×4, first 2 shown]
	v_lshlrev_b32_e32 v27, 4, v27
	v_cmp_gt_u32_e64 s0, 0x58, v76
	s_clause 0x9
	global_load_b128 v[31:34], v27, s[4:5] offset:176
	global_load_b128 v[42:45], v27, s[4:5] offset:192
	;; [unrolled: 1-line block ×10, first 2 shown]
	ds_load_b64 v[38:39], v78
	ds_load_b64 v[50:51], v85
	;; [unrolled: 1-line block ×4, first 2 shown]
	ds_load_b64 v[98:99], v79 offset:12320
	ds_load_b64 v[100:101], v84
	s_wait_loadcnt_dscnt 0x905
	v_mul_f64_e32 v[35:36], v[38:39], v[33:34]
	s_wait_loadcnt_dscnt 0x804
	v_mul_f64_e32 v[60:61], v[50:51], v[44:45]
	;; [unrolled: 2-line block ×3, first 2 shown]
	s_wait_loadcnt 0x1
	v_mul_f64_e32 v[102:103], v[10:11], v[90:91]
	s_delay_alu instid0(VALU_DEP_4)
	v_fma_f64 v[40:41], v[24:25], v[31:32], v[35:36]
	v_mul_f64_e32 v[24:25], v[24:25], v[33:34]
	v_mul_f64_e32 v[33:34], v[18:19], v[48:49]
	v_fma_f64 v[36:37], v[22:23], v[42:43], v[60:61]
	v_mul_f64_e32 v[22:23], v[22:23], v[44:45]
	v_mul_f64_e32 v[44:45], v[14:15], v[64:65]
	s_wait_dscnt 0x1
	v_mul_f64_e32 v[48:49], v[98:99], v[48:49]
	v_add_f64_e32 v[96:97], v[0:1], v[40:41]
	v_fma_f64 v[60:61], v[38:39], v[31:32], -v[24:25]
	v_fma_f64 v[24:25], v[98:99], v[46:47], -v[33:34]
	ds_load_2addr_b64 v[31:34], v26 offset0:80 offset1:234
	v_mul_f64_e32 v[38:39], v[74:75], v[68:69]
	v_fma_f64 v[26:27], v[4:5], v[54:55], v[85:86]
	v_mul_f64_e32 v[98:99], v[12:13], v[72:73]
	v_fma_f64 v[50:51], v[50:51], v[42:43], -v[22:23]
	s_wait_dscnt 0x0
	v_mul_f64_e32 v[64:65], v[33:34], v[64:65]
	v_add_f64_e32 v[85:86], v[96:97], v[36:37]
	v_mul_f64_e32 v[96:97], v[4:5], v[56:57]
	v_fma_f64 v[4:5], v[33:34], v[62:63], -v[44:45]
	v_fma_f64 v[56:57], v[18:19], v[46:47], v[48:49]
	v_add_f64_e64 v[22:23], v[60:61], -v[24:25]
	v_mul_f64_e32 v[33:34], v[100:101], v[82:83]
	v_fma_f64 v[18:19], v[16:17], v[66:67], v[38:39]
	v_mul_f64_e32 v[48:49], v[16:17], v[68:69]
	v_mul_f64_e32 v[68:69], v[31:32], v[72:73]
	v_fma_f64 v[16:17], v[31:32], v[70:71], -v[98:99]
	v_fma_f64 v[46:47], v[14:15], v[62:63], v[64:65]
	v_add_f64_e32 v[42:43], v[85:86], v[26:27]
	ds_load_2addr_b64 v[84:87], v30 offset0:28 offset1:182
	v_fma_f64 v[44:45], v[58:59], v[54:55], -v[96:97]
	v_add_f64_e64 v[14:15], v[50:51], -v[4:5]
	v_add_f64_e32 v[54:55], v[40:41], v[56:57]
	v_mul_f64_e32 v[72:73], s[12:13], v[22:23]
	v_mul_f64_e32 v[96:97], s[6:7], v[22:23]
	;; [unrolled: 1-line block ×5, first 2 shown]
	v_fma_f64 v[38:39], v[20:21], v[80:81], v[33:34]
	v_mul_f64_e32 v[20:21], v[20:21], v[82:83]
	s_wait_loadcnt 0x0
	v_mul_f64_e32 v[34:35], v[8:9], v[94:95]
	v_fma_f64 v[62:63], v[74:75], v[66:67], -v[48:49]
	v_fma_f64 v[68:69], v[12:13], v[70:71], v[68:69]
	s_wait_dscnt 0x0
	v_mul_f64_e32 v[30:31], v[84:85], v[94:95]
	v_mul_f64_e32 v[82:83], v[86:87], v[90:91]
	v_add_f64_e32 v[48:49], v[36:37], v[46:47]
	v_add_f64_e32 v[32:33], v[42:43], v[18:19]
	v_fma_f64 v[42:43], v[86:87], v[88:89], -v[102:103]
	v_add_f64_e64 v[12:13], v[44:45], -v[16:17]
	v_mul_f64_e32 v[74:75], s[12:13], v[14:15]
	v_mul_f64_e32 v[86:87], s[14:15], v[14:15]
	s_wait_alu 0xfffe
	v_mul_f64_e32 v[90:91], s[18:19], v[14:15]
	v_mul_f64_e32 v[94:95], s[28:29], v[14:15]
	;; [unrolled: 1-line block ×3, first 2 shown]
	v_fma_f64 v[102:103], v[54:55], s[20:21], v[96:97]
	v_fma_f64 v[104:105], v[54:55], s[26:27], v[98:99]
	v_fma_f64 v[106:107], v[54:55], s[36:37], v[22:23]
	v_fma_f64 v[98:99], v[54:55], s[26:27], -v[98:99]
	v_fma_f64 v[22:23], v[54:55], s[36:37], -v[22:23]
	;; [unrolled: 1-line block ×4, first 2 shown]
	v_fma_f64 v[58:59], v[8:9], v[92:93], v[30:31]
	v_fma_f64 v[30:31], v[54:55], s[22:23], v[72:73]
	v_fma_f64 v[72:73], v[54:55], s[22:23], -v[72:73]
	v_fma_f64 v[8:9], v[54:55], s[24:25], v[64:65]
	v_fma_f64 v[54:55], v[54:55], s[24:25], -v[64:65]
	v_fma_f64 v[64:65], v[100:101], v[80:81], -v[20:21]
	v_fma_f64 v[70:71], v[10:11], v[88:89], v[82:83]
	v_add_f64_e32 v[10:11], v[26:27], v[68:69]
	v_add_f64_e32 v[32:33], v[32:33], v[38:39]
	v_add_f64_e64 v[20:21], v[62:63], -v[42:43]
	v_mul_f64_e32 v[34:35], s[6:7], v[12:13]
	v_mul_f64_e32 v[80:81], s[18:19], v[12:13]
	;; [unrolled: 1-line block ×5, first 2 shown]
	v_fma_f64 v[88:89], v[48:49], s[22:23], v[74:75]
	v_fma_f64 v[74:75], v[48:49], s[22:23], -v[74:75]
	v_fma_f64 v[92:93], v[48:49], s[26:27], v[86:87]
	v_fma_f64 v[86:87], v[48:49], s[26:27], -v[86:87]
	;; [unrolled: 2-line block ×5, first 2 shown]
	v_add_f64_e32 v[98:99], v[0:1], v[98:99]
	v_add_f64_e32 v[22:23], v[0:1], v[22:23]
	v_add_f64_e32 v[96:97], v[0:1], v[96:97]
	v_add_f64_e32 v[30:31], v[0:1], v[30:31]
	v_add_f64_e32 v[48:49], v[0:1], v[72:73]
	v_add_f64_e32 v[72:73], v[0:1], v[102:103]
	v_add_f64_e32 v[8:9], v[0:1], v[8:9]
	v_add_f64_e32 v[102:103], v[0:1], v[104:105]
	v_add_f64_e32 v[104:105], v[0:1], v[106:107]
	v_add_f64_e32 v[0:1], v[0:1], v[54:55]
	v_add_f64_e32 v[54:55], v[18:19], v[70:71]
	v_add_f64_e64 v[106:107], v[64:65], -v[66:67]
	v_add_f64_e32 v[32:33], v[32:33], v[58:59]
	v_mul_f64_e32 v[114:115], s[28:29], v[20:21]
	v_mul_f64_e32 v[116:117], s[2:3], v[20:21]
	v_fma_f64 v[120:121], v[10:11], s[20:21], v[34:35]
	v_fma_f64 v[34:35], v[10:11], s[20:21], -v[34:35]
	v_fma_f64 v[122:123], v[10:11], s[36:37], v[80:81]
	v_fma_f64 v[80:81], v[10:11], s[36:37], -v[80:81]
	;; [unrolled: 2-line block ×5, first 2 shown]
	v_mul_f64_e32 v[112:113], s[14:15], v[20:21]
	v_mul_f64_e32 v[118:119], s[16:17], v[20:21]
	;; [unrolled: 1-line block ×3, first 2 shown]
	v_add_f64_e32 v[14:15], v[14:15], v[22:23]
	v_add_f64_e32 v[22:23], v[90:91], v[96:97]
	;; [unrolled: 1-line block ×11, first 2 shown]
	v_mul_f64_e32 v[90:91], s[16:17], v[106:107]
	v_mul_f64_e32 v[92:93], s[30:31], v[106:107]
	v_mul_f64_e32 v[94:95], s[14:15], v[106:107]
	v_mul_f64_e32 v[96:97], s[34:35], v[106:107]
	v_mul_f64_e32 v[98:99], s[6:7], v[106:107]
	v_add_f64_e32 v[32:33], v[32:33], v[70:71]
	v_fma_f64 v[104:105], v[54:55], s[20:21], v[114:115]
	v_fma_f64 v[106:107], v[54:55], s[20:21], -v[114:115]
	v_fma_f64 v[108:109], v[54:55], s[24:25], v[116:117]
	v_fma_f64 v[110:111], v[54:55], s[24:25], -v[116:117]
	;; [unrolled: 2-line block ×5, first 2 shown]
	v_add_f64_e32 v[10:11], v[10:11], v[14:15]
	v_add_f64_e32 v[14:15], v[82:83], v[22:23]
	;; [unrolled: 1-line block ×10, first 2 shown]
	v_fma_f64 v[34:35], v[74:75], s[36:37], -v[90:91]
	v_fma_f64 v[82:83], v[74:75], s[24:25], v[92:93]
	v_fma_f64 v[84:85], v[74:75], s[24:25], -v[92:93]
	v_fma_f64 v[86:87], v[74:75], s[26:27], v[94:95]
	;; [unrolled: 2-line block ×3, first 2 shown]
	v_fma_f64 v[92:93], v[74:75], s[22:23], -v[96:97]
	v_add_f64_e32 v[22:23], v[32:33], v[68:69]
	v_fma_f64 v[32:33], v[74:75], s[36:37], v[90:91]
	v_fma_f64 v[90:91], v[74:75], s[22:23], v[96:97]
	v_fma_f64 v[74:75], v[74:75], s[20:21], -v[98:99]
	v_add_f64_e32 v[20:21], v[20:21], v[10:11]
	v_add_f64_e32 v[14:15], v[110:111], v[14:15]
	;; [unrolled: 1-line block ×12, first 2 shown]
	v_add_nc_u32_e32 v74, 0xf00, v79
	v_add_nc_u32_e32 v75, 0x1e00, v79
	v_add_f64_e32 v[12:13], v[82:83], v[12:13]
	v_add_f64_e32 v[10:11], v[84:85], v[30:31]
	v_add_f64_e32 v[30:31], v[86:87], v[48:49]
	v_add_f64_e32 v[32:33], v[32:33], v[8:9]
	v_add_f64_e32 v[54:55], v[90:91], v[54:55]
	v_add_f64_e32 v[81:82], v[94:95], v[80:81]
	v_add_f64_e32 v[48:49], v[92:93], v[72:73]
	v_add_f64_e32 v[8:9], v[88:89], v[14:15]
	v_add_f64_e32 v[0:1], v[34:35], v[0:1]
	ds_load_b64 v[72:73], v79
	global_wb scope:SCOPE_SE
	s_wait_dscnt 0x0
	s_barrier_signal -1
	s_barrier_wait -1
	global_inv scope:SCOPE_SE
	v_add_f64_e32 v[14:15], v[22:23], v[56:57]
	v_and_b32_e32 v22, 0xffff, v28
	v_lshlrev_b32_e32 v23, 3, v29
	s_delay_alu instid0(VALU_DEP_2) | instskip(NEXT) | instid1(VALU_DEP_1)
	v_mul_u32_u24_e32 v22, 0x790, v22
	v_add3_u32 v80, 0, v22, v23
	ds_store_2addr_b64 v80, v[12:13], v[30:31] offset0:44 offset1:66
	ds_store_2addr_b64 v80, v[54:55], v[81:82] offset0:88 offset1:110
	;; [unrolled: 1-line block ×4, first 2 shown]
	ds_store_b64 v80, v[0:1] offset:1760
	ds_store_2addr_b64 v80, v[14:15], v[32:33] offset1:22
	global_wb scope:SCOPE_SE
	s_wait_dscnt 0x0
	s_barrier_signal -1
	s_barrier_wait -1
	global_inv scope:SCOPE_SE
	ds_load_2addr_b64 v[20:23], v79 offset1:242
	ds_load_2addr_b64 v[28:31], v74 offset0:4 offset1:246
	ds_load_2addr_b64 v[32:35], v75 offset0:8 offset1:250
	ds_load_b64 v[54:55], v79 offset:11616
                                        ; implicit-def: $vgpr14_vgpr15
	s_and_saveexec_b32 s1, s0
	s_cbranch_execz .LBB0_23
; %bb.22:
	v_add_nc_u32_e32 v0, 0xc00, v79
	v_add_nc_u32_e32 v1, 0x1b80, v79
	;; [unrolled: 1-line block ×3, first 2 shown]
	ds_load_b64 v[48:49], v78
	ds_load_2addr_b64 v[8:11], v0 offset0:12 offset1:254
	ds_load_2addr_b64 v[0:3], v1 offset1:242
	ds_load_2addr_b64 v[12:15], v12 offset0:4 offset1:246
.LBB0_23:
	s_wait_alu 0xfffe
	s_or_b32 exec_lo, exec_lo, s1
	v_add_f64_e32 v[81:82], v[72:73], v[60:61]
	v_add_f64_e32 v[60:61], v[60:61], v[24:25]
	v_add_f64_e64 v[40:41], v[40:41], -v[56:57]
	s_mov_b32 s39, 0x3fe82f19
	s_mov_b32 s38, s14
	v_add_f64_e64 v[36:37], v[36:37], -v[46:47]
	v_add_f64_e64 v[26:27], v[26:27], -v[68:69]
	;; [unrolled: 1-line block ×4, first 2 shown]
	global_wb scope:SCOPE_SE
	s_wait_dscnt 0x0
	s_barrier_signal -1
	s_barrier_wait -1
	global_inv scope:SCOPE_SE
	v_add_f64_e32 v[81:82], v[81:82], v[50:51]
	v_add_f64_e32 v[50:51], v[50:51], v[4:5]
	v_mul_f64_e32 v[56:57], s[24:25], v[60:61]
	v_mul_f64_e32 v[83:84], s[22:23], v[60:61]
	;; [unrolled: 1-line block ×5, first 2 shown]
	v_add_f64_e32 v[81:82], v[81:82], v[44:45]
	v_add_f64_e32 v[44:45], v[44:45], v[16:17]
	v_mul_f64_e32 v[46:47], s[22:23], v[50:51]
	v_mul_f64_e32 v[89:90], s[26:27], v[50:51]
	v_mul_f64_e32 v[91:92], s[36:37], v[50:51]
	v_mul_f64_e32 v[93:94], s[20:21], v[50:51]
	v_mul_f64_e32 v[50:51], s[24:25], v[50:51]
	v_fma_f64 v[95:96], v[40:41], s[30:31], v[56:57]
	v_fma_f64 v[97:98], v[40:41], s[34:35], v[83:84]
	;; [unrolled: 1-line block ×10, first 2 shown]
	v_add_f64_e32 v[81:82], v[81:82], v[62:63]
	v_add_f64_e32 v[62:63], v[62:63], v[42:43]
	v_mul_f64_e32 v[68:69], s[20:21], v[44:45]
	v_mul_f64_e32 v[105:106], s[22:23], v[44:45]
	;; [unrolled: 1-line block ×3, first 2 shown]
	v_fma_f64 v[109:110], v[36:37], s[34:35], v[46:47]
	v_fma_f64 v[46:47], v[36:37], s[12:13], v[46:47]
	;; [unrolled: 1-line block ×10, first 2 shown]
	v_add_f64_e32 v[50:51], v[72:73], v[95:96]
	v_add_f64_e32 v[95:96], v[72:73], v[97:98]
	;; [unrolled: 1-line block ×11, first 2 shown]
	v_mul_f64_e32 v[81:82], s[36:37], v[44:45]
	v_mul_f64_e32 v[44:45], s[26:27], v[44:45]
	v_add_f64_e32 v[64:65], v[64:65], v[66:67]
	v_mul_f64_e32 v[70:71], s[20:21], v[62:63]
	v_mul_f64_e32 v[72:73], s[24:25], v[62:63]
	;; [unrolled: 1-line block ×3, first 2 shown]
	v_fma_f64 v[119:120], v[26:27], s[28:29], v[68:69]
	v_fma_f64 v[68:69], v[26:27], s[6:7], v[68:69]
	;; [unrolled: 1-line block ×6, first 2 shown]
	v_add_f64_e32 v[83:84], v[89:90], v[83:84]
	v_add_f64_e32 v[89:90], v[113:114], v[97:98]
	;; [unrolled: 1-line block ×8, first 2 shown]
	v_mul_f64_e32 v[66:67], s[26:27], v[62:63]
	v_mul_f64_e32 v[62:63], s[22:23], v[62:63]
	v_fma_f64 v[121:122], v[26:27], s[16:17], v[81:82]
	v_fma_f64 v[81:82], v[26:27], s[18:19], v[81:82]
	v_fma_f64 v[127:128], v[26:27], s[38:39], v[44:45]
	v_fma_f64 v[26:27], v[26:27], s[14:15], v[44:45]
	v_add_f64_e32 v[44:45], v[109:110], v[50:51]
	v_add_f64_e32 v[50:51], v[111:112], v[95:96]
	;; [unrolled: 1-line block ×3, first 2 shown]
	v_mul_f64_e32 v[46:47], s[36:37], v[64:65]
	v_mul_f64_e32 v[58:59], s[26:27], v[64:65]
	;; [unrolled: 1-line block ×3, first 2 shown]
	v_fma_f64 v[97:98], v[18:19], s[6:7], v[70:71]
	v_fma_f64 v[70:71], v[18:19], s[28:29], v[70:71]
	;; [unrolled: 1-line block ×6, first 2 shown]
	v_add_f64_e32 v[87:88], v[107:108], v[87:88]
	v_add_f64_e32 v[40:41], v[68:69], v[40:41]
	;; [unrolled: 1-line block ×3, first 2 shown]
	v_mul_f64_e32 v[56:57], s[24:25], v[64:65]
	v_mul_f64_e32 v[64:65], s[20:21], v[64:65]
	v_fma_f64 v[91:92], v[18:19], s[38:39], v[66:67]
	v_fma_f64 v[66:67], v[18:19], s[14:15], v[66:67]
	;; [unrolled: 1-line block ×4, first 2 shown]
	v_add_f64_e32 v[44:45], v[119:120], v[44:45]
	v_add_f64_e32 v[50:51], v[121:122], v[50:51]
	;; [unrolled: 1-line block ×8, first 2 shown]
	v_fma_f64 v[68:69], v[38:39], s[38:39], v[58:59]
	v_fma_f64 v[58:59], v[38:39], s[14:15], v[58:59]
	;; [unrolled: 1-line block ×4, first 2 shown]
	v_add_f64_e32 v[16:17], v[42:43], v[16:17]
	v_fma_f64 v[42:43], v[38:39], s[18:19], v[46:47]
	v_fma_f64 v[46:47], v[38:39], s[16:17], v[46:47]
	;; [unrolled: 1-line block ×6, first 2 shown]
	v_add_f64_e32 v[44:45], v[91:92], v[44:45]
	v_add_f64_e32 v[50:51], v[97:98], v[50:51]
	;; [unrolled: 1-line block ×22, first 2 shown]
	ds_store_2addr_b64 v80, v[44:45], v[56:57] offset0:44 offset1:66
	ds_store_2addr_b64 v80, v[60:61], v[62:63] offset0:88 offset1:110
	;; [unrolled: 1-line block ×4, first 2 shown]
	ds_store_b64 v80, v[4:5] offset:1760
	ds_store_2addr_b64 v80, v[24:25], v[42:43] offset1:22
	global_wb scope:SCOPE_SE
	s_wait_dscnt 0x0
	s_barrier_signal -1
	s_barrier_wait -1
	global_inv scope:SCOPE_SE
	ds_load_2addr_b64 v[36:39], v79 offset1:242
	ds_load_2addr_b64 v[40:43], v74 offset0:4 offset1:246
	ds_load_2addr_b64 v[44:47], v75 offset0:8 offset1:250
	ds_load_b64 v[56:57], v79 offset:11616
                                        ; implicit-def: $vgpr26_vgpr27
	s_and_saveexec_b32 s1, s0
	s_cbranch_execz .LBB0_25
; %bb.24:
	v_add_nc_u32_e32 v4, 0xc00, v79
	v_add_nc_u32_e32 v5, 0x1b80, v79
	;; [unrolled: 1-line block ×3, first 2 shown]
	ds_load_b64 v[50:51], v78
	ds_load_2addr_b64 v[16:19], v4 offset0:12 offset1:254
	ds_load_2addr_b64 v[4:7], v5 offset1:242
	ds_load_2addr_b64 v[24:27], v24 offset0:4 offset1:246
.LBB0_25:
	s_wait_alu 0xfffe
	s_or_b32 exec_lo, exec_lo, s1
	s_and_saveexec_b32 s1, vcc_lo
	s_cbranch_execz .LBB0_28
; %bb.26:
	v_mul_u32_u24_e32 v58, 6, v76
	s_mov_b32 s20, 0xe976ee23
	s_mov_b32 s21, 0x3fe11646
	s_mov_b32 s6, 0x429ad128
	s_mov_b32 s7, 0xbfebfeb5
	v_lshlrev_b32_e32 v74, 4, v58
	s_mov_b32 s26, 0x37e14327
	s_mov_b32 s16, 0x36b3c0b5
	;; [unrolled: 1-line block ×4, first 2 shown]
	s_clause 0x5
	global_load_b128 v[58:61], v74, s[4:5] offset:3712
	global_load_b128 v[62:65], v74, s[4:5] offset:3760
	;; [unrolled: 1-line block ×6, first 2 shown]
	s_mov_b32 s22, 0xb247c609
	s_mov_b32 s23, 0xbfd5d0dc
	;; [unrolled: 1-line block ×3, first 2 shown]
	s_wait_alu 0xfffe
	s_mov_b32 s18, s22
	s_mov_b32 s12, 0xaaaaaaaa
	s_mov_b32 s14, 0x5476071b
	s_mov_b32 s13, 0xbff2aaaa
	s_mov_b32 s15, 0xbfe77f67
	s_mov_b32 s25, 0x3fe77f67
	s_wait_alu 0xfffe
	s_mov_b32 s24, s14
	s_mov_b32 s2, 0x37c3f68c
	;; [unrolled: 1-line block ×3, first 2 shown]
	s_wait_loadcnt 0x5
	v_mul_f64_e32 v[74:75], v[28:29], v[60:61]
	s_wait_loadcnt 0x4
	v_mul_f64_e32 v[86:87], v[34:35], v[64:65]
	;; [unrolled: 2-line block ×4, first 2 shown]
	v_mul_f64_e32 v[28:29], v[28:29], v[58:59]
	v_mul_f64_e32 v[34:35], v[34:35], v[62:63]
	;; [unrolled: 1-line block ×4, first 2 shown]
	s_wait_loadcnt 0x1
	v_mul_f64_e32 v[92:93], v[32:33], v[78:79]
	s_wait_loadcnt 0x0
	v_mul_f64_e32 v[94:95], v[30:31], v[82:83]
	v_mul_f64_e32 v[30:31], v[30:31], v[84:85]
	;; [unrolled: 1-line block ×3, first 2 shown]
	s_wait_dscnt 0x2
	v_fma_f64 v[58:59], v[40:41], v[58:59], -v[74:75]
	s_wait_dscnt 0x1
	v_fma_f64 v[62:63], v[46:47], v[62:63], -v[86:87]
	v_fma_f64 v[66:67], v[38:39], v[66:67], -v[88:89]
	s_wait_dscnt 0x0
	v_fma_f64 v[70:71], v[56:57], v[70:71], -v[90:91]
	v_fma_f64 v[28:29], v[40:41], v[60:61], v[28:29]
	v_fma_f64 v[34:35], v[46:47], v[64:65], v[34:35]
	;; [unrolled: 1-line block ×6, first 2 shown]
	v_fma_f64 v[30:31], v[42:43], v[82:83], -v[30:31]
	v_fma_f64 v[32:33], v[44:45], v[78:79], -v[32:33]
	v_add_nc_u32_e32 v95, 0x4ba, v76
	v_add_nc_u32_e32 v92, 0x1e4, v76
	;; [unrolled: 1-line block ×3, first 2 shown]
	v_add_f64_e32 v[42:43], v[58:59], v[62:63]
	v_add_f64_e32 v[44:45], v[66:67], v[70:71]
	;; [unrolled: 1-line block ×3, first 2 shown]
	v_add_f64_e64 v[28:29], v[28:29], -v[34:35]
	v_add_f64_e32 v[56:57], v[22:23], v[38:39]
	v_add_f64_e64 v[22:23], v[22:23], -v[38:39]
	v_add_f64_e64 v[60:61], v[40:41], -v[46:47]
	v_add_f64_e32 v[40:41], v[40:41], v[46:47]
	v_add_f64_e32 v[34:35], v[32:33], v[30:31]
	v_add_f64_e64 v[30:31], v[32:33], -v[30:31]
	v_add_f64_e64 v[32:33], v[58:59], -v[62:63]
	;; [unrolled: 1-line block ×3, first 2 shown]
	v_add_f64_e32 v[38:39], v[42:43], v[44:45]
	v_add_f64_e32 v[58:59], v[54:55], v[56:57]
	v_add_f64_e64 v[70:71], v[28:29], -v[22:23]
	v_add_f64_e64 v[62:63], v[60:61], -v[28:29]
	;; [unrolled: 1-line block ×4, first 2 shown]
	v_add_f64_e32 v[74:75], v[60:61], v[28:29]
	v_add_f64_e64 v[68:69], v[30:31], -v[32:33]
	v_add_f64_e64 v[72:73], v[32:33], -v[46:47]
	;; [unrolled: 1-line block ×3, first 2 shown]
	v_add_f64_e32 v[32:33], v[30:31], v[32:33]
	v_add_f64_e64 v[78:79], v[46:47], -v[30:31]
	v_add_f64_e32 v[38:39], v[34:35], v[38:39]
	v_add_f64_e64 v[34:35], v[34:35], -v[42:43]
	v_add_f64_e32 v[58:59], v[40:41], v[58:59]
	v_add_f64_e64 v[40:41], v[40:41], -v[54:55]
	v_mul_f64_e32 v[62:63], s[20:21], v[62:63]
	v_mul_f64_e32 v[80:81], s[6:7], v[70:71]
	;; [unrolled: 1-line block ×5, first 2 shown]
	v_add_f64_e32 v[22:23], v[74:75], v[22:23]
	v_add_f64_e32 v[32:33], v[32:33], v[46:47]
	;; [unrolled: 1-line block ×3, first 2 shown]
	v_add_f64_e64 v[36:37], v[42:43], -v[44:45]
	v_mul_f64_e32 v[42:43], s[16:17], v[34:35]
	v_add_f64_e64 v[44:45], v[54:55], -v[56:57]
	v_mul_f64_e32 v[54:55], s[6:7], v[72:73]
	v_add_f64_e32 v[28:29], v[20:21], v[58:59]
	v_mul_f64_e32 v[20:21], s[16:17], v[40:41]
	v_fma_f64 v[46:47], v[60:61], s[22:23], v[62:63]
	v_fma_f64 v[60:61], v[60:61], s[18:19], -v[80:81]
	v_fma_f64 v[62:63], v[70:71], s[6:7], -v[62:63]
	v_fma_f64 v[34:35], v[34:35], s[16:17], v[64:65]
	v_fma_f64 v[40:41], v[40:41], s[16:17], v[66:67]
	;; [unrolled: 1-line block ×3, first 2 shown]
	v_mad_co_u64_u32 v[70:71], null, s8, v92, 0
	v_fma_f64 v[38:39], v[38:39], s[12:13], v[30:31]
	v_fma_f64 v[64:65], v[36:37], s[14:15], -v[64:65]
	s_wait_alu 0xfffe
	v_fma_f64 v[36:37], v[36:37], s[24:25], -v[42:43]
	v_fma_f64 v[42:43], v[44:45], s[14:15], -v[66:67]
	v_fma_f64 v[54:55], v[78:79], s[18:19], -v[54:55]
	v_fma_f64 v[66:67], v[72:73], s[6:7], -v[68:69]
	v_fma_f64 v[58:59], v[58:59], s[12:13], v[28:29]
	v_fma_f64 v[20:21], v[44:45], s[24:25], -v[20:21]
	v_mad_co_u64_u32 v[44:45], null, s8, v76, 0
	v_mad_co_u64_u32 v[78:79], null, s8, v95, 0
	v_fma_f64 v[60:61], v[22:23], s[2:3], v[60:61]
	v_add_nc_u32_e32 v91, 0xf2, v76
	v_fma_f64 v[85:86], v[32:33], s[2:3], v[56:57]
	v_mad_co_u64_u32 v[72:73], null, s8, v93, 0
	v_mad_co_u64_u32 v[82:83], null, s9, v76, v[45:46]
	v_fma_f64 v[83:84], v[22:23], s[2:3], v[46:47]
	v_fma_f64 v[22:23], v[22:23], s[2:3], v[62:63]
	v_add_nc_u32_e32 v94, 0x3c8, v76
	v_add_f64_e32 v[62:63], v[34:35], v[38:39]
	v_add_f64_e32 v[64:65], v[64:65], v[38:39]
	;; [unrolled: 1-line block ×3, first 2 shown]
	v_fma_f64 v[87:88], v[32:33], s[2:3], v[54:55]
	v_fma_f64 v[32:33], v[32:33], s[2:3], v[66:67]
	v_add_f64_e32 v[66:67], v[40:41], v[58:59]
	v_add_f64_e32 v[89:90], v[42:43], v[58:59]
	v_add_f64_e32 v[40:41], v[20:21], v[58:59]
	v_mov_b32_e32 v20, v79
	v_mad_co_u64_u32 v[68:69], null, s8, v91, 0
	s_delay_alu instid0(VALU_DEP_1)
	v_mov_b32_e32 v45, v69
	v_mov_b32_e32 v69, v71
	;; [unrolled: 1-line block ×3, first 2 shown]
	v_mad_co_u64_u32 v[74:75], null, s8, v94, 0
	v_add_nc_u32_e32 v96, 0x5ac, v76
	v_mad_co_u64_u32 v[34:35], null, s9, v91, v[45:46]
	s_delay_alu instid0(VALU_DEP_4)
	v_mad_co_u64_u32 v[42:43], null, s9, v93, v[71:72]
	v_mad_co_u64_u32 v[38:39], null, s9, v92, v[69:70]
	v_mov_b32_e32 v73, v75
	v_mad_co_u64_u32 v[80:81], null, s8, v96, 0
	v_mov_b32_e32 v45, v82
	v_mov_b32_e32 v69, v34
	s_delay_alu instid0(VALU_DEP_4)
	v_mad_co_u64_u32 v[46:47], null, s9, v94, v[73:74]
	v_mov_b32_e32 v73, v42
	v_add_f64_e64 v[58:59], v[62:63], -v[83:84]
	v_mov_b32_e32 v21, v81
	v_lshlrev_b64_e32 v[91:92], 4, v[44:45]
	v_add_f64_e64 v[42:43], v[36:37], -v[22:23]
	v_mov_b32_e32 v71, v38
	v_mov_b32_e32 v75, v46
	v_mad_co_u64_u32 v[54:55], null, s9, v95, v[20:21]
	v_mad_co_u64_u32 v[55:56], null, s9, v96, v[21:22]
	v_add_co_u32 v20, vcc_lo, s10, v52
	v_add_f64_e32 v[56:57], v[85:86], v[66:67]
	s_wait_alu 0xfffd
	v_add_co_ci_u32_e32 v21, vcc_lo, s11, v53, vcc_lo
	v_mov_b32_e32 v79, v54
	v_mov_b32_e32 v81, v55
	v_add_f64_e64 v[54:55], v[64:65], -v[60:61]
	v_add_f64_e32 v[52:53], v[87:88], v[89:90]
	v_add_f64_e32 v[46:47], v[22:23], v[36:37]
	v_add_f64_e64 v[44:45], v[40:41], -v[32:33]
	v_add_f64_e32 v[40:41], v[32:33], v[40:41]
	v_add_f64_e32 v[38:39], v[60:61], v[64:65]
	v_add_f64_e64 v[36:37], v[89:90], -v[87:88]
	v_add_f64_e32 v[34:35], v[83:84], v[62:63]
	v_add_f64_e64 v[32:33], v[66:67], -v[85:86]
	v_lshlrev_b64_e32 v[68:69], 4, v[68:69]
	v_lshlrev_b64_e32 v[70:71], 4, v[70:71]
	v_add_co_u32 v64, vcc_lo, v20, v91
	s_wait_alu 0xfffd
	v_add_co_ci_u32_e32 v65, vcc_lo, v21, v92, vcc_lo
	v_lshlrev_b64_e32 v[72:73], 4, v[72:73]
	v_add_co_u32 v66, vcc_lo, v20, v68
	s_wait_alu 0xfffd
	v_add_co_ci_u32_e32 v67, vcc_lo, v21, v69, vcc_lo
	;; [unrolled: 4-line block ×5, first 2 shown]
	v_add_co_u32 v60, vcc_lo, v20, v60
	s_wait_alu 0xfffd
	v_add_co_ci_u32_e32 v61, vcc_lo, v21, v61, vcc_lo
	v_add_co_u32 v62, vcc_lo, v20, v62
	s_wait_alu 0xfffd
	v_add_co_ci_u32_e32 v63, vcc_lo, v21, v63, vcc_lo
	s_clause 0x6
	global_store_b128 v[64:65], v[28:31], off
	global_store_b128 v[66:67], v[56:59], off
	;; [unrolled: 1-line block ×7, first 2 shown]
	s_and_b32 exec_lo, exec_lo, s0
	s_cbranch_execz .LBB0_28
; %bb.27:
	v_dual_mov_b32 v23, 0 :: v_dual_add_nc_u32 v22, 0xffffffa8, v76
	v_add_nc_u32_e32 v66, 0x646, v76
	s_delay_alu instid0(VALU_DEP_2) | instskip(NEXT) | instid1(VALU_DEP_1)
	v_cndmask_b32_e64 v22, v22, v77, s0
	v_mul_i32_i24_e32 v22, 6, v22
	s_delay_alu instid0(VALU_DEP_1) | instskip(NEXT) | instid1(VALU_DEP_1)
	v_lshlrev_b64_e32 v[22:23], 4, v[22:23]
	v_add_co_u32 v22, vcc_lo, s4, v22
	s_wait_alu 0xfffd
	s_delay_alu instid0(VALU_DEP_2)
	v_add_co_ci_u32_e32 v23, vcc_lo, s5, v23, vcc_lo
	s_clause 0x5
	global_load_b128 v[28:31], v[22:23], off offset:3696
	global_load_b128 v[32:35], v[22:23], off offset:3712
	;; [unrolled: 1-line block ×6, first 2 shown]
	s_wait_loadcnt 0x5
	v_mul_f64_e32 v[22:23], v[16:17], v[30:31]
	s_wait_loadcnt 0x4
	v_mul_f64_e32 v[56:57], v[18:19], v[34:35]
	;; [unrolled: 2-line block ×4, first 2 shown]
	v_mul_f64_e32 v[30:31], v[8:9], v[30:31]
	v_mul_f64_e32 v[34:35], v[10:11], v[34:35]
	;; [unrolled: 1-line block ×4, first 2 shown]
	s_wait_loadcnt 0x1
	v_mul_f64_e32 v[62:63], v[4:5], v[46:47]
	v_mul_f64_e32 v[46:47], v[0:1], v[46:47]
	s_wait_loadcnt 0x0
	v_mul_f64_e32 v[64:65], v[6:7], v[54:55]
	v_mul_f64_e32 v[54:55], v[2:3], v[54:55]
	v_fma_f64 v[8:9], v[8:9], v[28:29], v[22:23]
	v_fma_f64 v[10:11], v[10:11], v[32:33], v[56:57]
	;; [unrolled: 1-line block ×4, first 2 shown]
	v_fma_f64 v[16:17], v[16:17], v[28:29], -v[30:31]
	v_fma_f64 v[18:19], v[18:19], v[32:33], -v[34:35]
	;; [unrolled: 1-line block ×4, first 2 shown]
	v_fma_f64 v[0:1], v[0:1], v[44:45], v[62:63]
	v_fma_f64 v[4:5], v[4:5], v[44:45], -v[46:47]
	v_fma_f64 v[2:3], v[2:3], v[52:53], v[64:65]
	v_fma_f64 v[6:7], v[6:7], v[52:53], -v[54:55]
	v_add_nc_u32_e32 v61, 0x18c, v76
	v_add_nc_u32_e32 v63, 0x370, v76
	v_add_nc_u32_e32 v65, 0x554, v76
	v_add_f64_e32 v[26:27], v[8:9], v[14:15]
	v_add_f64_e32 v[30:31], v[10:11], v[12:13]
	v_add_f64_e64 v[10:11], v[10:11], -v[12:13]
	v_add_f64_e32 v[28:29], v[16:17], v[22:23]
	v_add_f64_e32 v[32:33], v[18:19], v[24:25]
	v_add_f64_e64 v[12:13], v[18:19], -v[24:25]
	;; [unrolled: 3-line block ×3, first 2 shown]
	v_add_f64_e64 v[2:3], v[6:7], -v[4:5]
	v_add_f64_e64 v[4:5], v[8:9], -v[14:15]
	;; [unrolled: 1-line block ×3, first 2 shown]
	v_add_f64_e32 v[8:9], v[30:31], v[26:27]
	v_add_f64_e32 v[14:15], v[32:33], v[28:29]
	v_add_f64_e64 v[16:17], v[26:27], -v[18:19]
	v_add_f64_e64 v[22:23], v[28:29], -v[24:25]
	;; [unrolled: 1-line block ×6, first 2 shown]
	v_add_f64_e32 v[10:11], v[0:1], v[10:11]
	v_add_f64_e64 v[42:43], v[4:5], -v[0:1]
	v_add_f64_e64 v[26:27], v[30:31], -v[26:27]
	v_add_f64_e32 v[12:13], v[2:3], v[12:13]
	v_add_f64_e64 v[44:45], v[6:7], -v[2:3]
	v_add_f64_e64 v[28:29], v[32:33], -v[28:29]
	v_add_f64_e32 v[8:9], v[18:19], v[8:9]
	v_add_f64_e64 v[18:19], v[18:19], -v[30:31]
	v_add_f64_e32 v[14:15], v[24:25], v[14:15]
	v_add_f64_e64 v[24:25], v[24:25], -v[32:33]
	v_mul_f64_e32 v[16:17], s[26:27], v[16:17]
	v_mul_f64_e32 v[22:23], s[26:27], v[22:23]
	;; [unrolled: 1-line block ×6, first 2 shown]
	v_add_f64_e32 v[4:5], v[10:11], v[4:5]
	v_add_f64_e32 v[6:7], v[12:13], v[6:7]
	v_add_f64_e32 v[0:1], v[48:49], v[8:9]
	v_mul_f64_e32 v[30:31], s[16:17], v[18:19]
	v_mad_co_u64_u32 v[48:49], null, s8, v65, 0
	v_add_f64_e32 v[2:3], v[50:51], v[14:15]
	v_mul_f64_e32 v[32:33], s[16:17], v[24:25]
	v_mad_co_u64_u32 v[50:51], null, s8, v66, 0
	v_fma_f64 v[10:11], v[18:19], s[16:17], v[16:17]
	v_fma_f64 v[18:19], v[42:43], s[22:23], v[34:35]
	v_fma_f64 v[34:35], v[38:39], s[6:7], -v[34:35]
	v_fma_f64 v[38:39], v[42:43], s[18:19], -v[46:47]
	;; [unrolled: 1-line block ×3, first 2 shown]
	v_fma_f64 v[12:13], v[24:25], s[16:17], v[22:23]
	v_fma_f64 v[24:25], v[44:45], s[22:23], v[36:37]
	v_fma_f64 v[36:37], v[40:41], s[6:7], -v[36:37]
	v_fma_f64 v[40:41], v[44:45], s[18:19], -v[52:53]
	;; [unrolled: 1-line block ×3, first 2 shown]
	v_add_nc_u32_e32 v64, 0x462, v76
	v_mad_co_u64_u32 v[44:45], null, s8, v63, 0
	v_fma_f64 v[8:9], v[8:9], s[12:13], v[0:1]
	v_fma_f64 v[26:27], v[26:27], s[24:25], -v[30:31]
	v_fma_f64 v[14:15], v[14:15], s[12:13], v[2:3]
	v_fma_f64 v[28:29], v[28:29], s[24:25], -v[32:33]
	v_mad_co_u64_u32 v[32:33], null, s8, v61, 0
	v_fma_f64 v[52:53], v[4:5], s[2:3], v[18:19]
	v_fma_f64 v[18:19], v[4:5], s[2:3], v[34:35]
	;; [unrolled: 1-line block ×6, first 2 shown]
	v_mov_b32_e32 v4, v33
	v_mov_b32_e32 v6, v45
	v_add_f64_e32 v[38:39], v[10:11], v[8:9]
	v_add_f64_e32 v[56:57], v[16:17], v[8:9]
	;; [unrolled: 1-line block ×3, first 2 shown]
	v_mov_b32_e32 v9, v51
	v_mad_co_u64_u32 v[46:47], null, s8, v64, 0
	v_add_f64_e32 v[40:41], v[12:13], v[14:15]
	v_add_f64_e32 v[58:59], v[22:23], v[14:15]
	v_add_nc_u32_e32 v62, 0x27e, v76
	v_add_f64_e32 v[22:23], v[28:29], v[14:15]
	v_dual_mov_b32 v8, v49 :: v_dual_mov_b32 v7, v47
	s_delay_alu instid0(VALU_DEP_3) | instskip(NEXT) | instid1(VALU_DEP_1)
	v_mad_co_u64_u32 v[42:43], null, s8, v62, 0
	v_dual_mov_b32 v5, v43 :: v_dual_add_nc_u32 v60, 0x9a, v76
	s_delay_alu instid0(VALU_DEP_1) | instskip(NEXT) | instid1(VALU_DEP_1)
	v_mad_co_u64_u32 v[30:31], null, s8, v60, 0
	v_mad_co_u64_u32 v[10:11], null, s9, v60, v[31:32]
	s_delay_alu instid0(VALU_DEP_3)
	v_mad_co_u64_u32 v[11:12], null, s9, v61, v[4:5]
	v_mad_co_u64_u32 v[4:5], null, s9, v62, v[5:6]
	;; [unrolled: 1-line block ×5, first 2 shown]
	v_mov_b32_e32 v31, v10
	v_mad_co_u64_u32 v[8:9], null, s9, v66, v[9:10]
	v_mov_b32_e32 v43, v4
	v_mov_b32_e32 v45, v5
	;; [unrolled: 1-line block ×4, first 2 shown]
	v_add_f64_e32 v[4:5], v[54:55], v[38:39]
	v_add_f64_e64 v[6:7], v[40:41], -v[52:53]
	v_mov_b32_e32 v33, v11
	v_mov_b32_e32 v51, v8
	v_add_f64_e32 v[8:9], v[36:37], v[56:57]
	v_add_f64_e64 v[10:11], v[58:59], -v[34:35]
	v_add_f64_e64 v[12:13], v[16:17], -v[24:25]
	v_add_f64_e32 v[14:15], v[18:19], v[22:23]
	v_add_f64_e32 v[16:17], v[24:25], v[16:17]
	v_add_f64_e64 v[18:19], v[22:23], -v[18:19]
	v_add_f64_e64 v[22:23], v[56:57], -v[36:37]
	v_add_f64_e32 v[24:25], v[34:35], v[58:59]
	v_add_f64_e64 v[26:27], v[38:39], -v[54:55]
	v_add_f64_e32 v[28:29], v[52:53], v[40:41]
	v_lshlrev_b64_e32 v[30:31], 4, v[30:31]
	v_lshlrev_b64_e32 v[32:33], 4, v[32:33]
	;; [unrolled: 1-line block ×6, first 2 shown]
	v_add_co_u32 v30, vcc_lo, v20, v30
	s_wait_alu 0xfffd
	v_add_co_ci_u32_e32 v31, vcc_lo, v21, v31, vcc_lo
	v_add_co_u32 v32, vcc_lo, v20, v32
	s_wait_alu 0xfffd
	v_add_co_ci_u32_e32 v33, vcc_lo, v21, v33, vcc_lo
	;; [unrolled: 3-line block ×4, first 2 shown]
	v_lshlrev_b64_e32 v[38:39], 4, v[50:51]
	v_add_co_u32 v34, vcc_lo, v20, v34
	s_wait_alu 0xfffd
	v_add_co_ci_u32_e32 v35, vcc_lo, v21, v35, vcc_lo
	v_add_co_u32 v36, vcc_lo, v20, v36
	s_wait_alu 0xfffd
	v_add_co_ci_u32_e32 v37, vcc_lo, v21, v37, vcc_lo
	;; [unrolled: 3-line block ×3, first 2 shown]
	s_clause 0x6
	global_store_b128 v[30:31], v[0:3], off
	global_store_b128 v[32:33], v[4:7], off
	;; [unrolled: 1-line block ×7, first 2 shown]
.LBB0_28:
	s_nop 0
	s_sendmsg sendmsg(MSG_DEALLOC_VGPRS)
	s_endpgm
	.section	.rodata,"a",@progbits
	.p2align	6, 0x0
	.amdhsa_kernel fft_rtc_back_len1694_factors_11_2_11_7_wgs_154_tpt_154_halfLds_dp_ip_CI_sbrr_dirReg
		.amdhsa_group_segment_fixed_size 0
		.amdhsa_private_segment_fixed_size 0
		.amdhsa_kernarg_size 88
		.amdhsa_user_sgpr_count 2
		.amdhsa_user_sgpr_dispatch_ptr 0
		.amdhsa_user_sgpr_queue_ptr 0
		.amdhsa_user_sgpr_kernarg_segment_ptr 1
		.amdhsa_user_sgpr_dispatch_id 0
		.amdhsa_user_sgpr_private_segment_size 0
		.amdhsa_wavefront_size32 1
		.amdhsa_uses_dynamic_stack 0
		.amdhsa_enable_private_segment 0
		.amdhsa_system_sgpr_workgroup_id_x 1
		.amdhsa_system_sgpr_workgroup_id_y 0
		.amdhsa_system_sgpr_workgroup_id_z 0
		.amdhsa_system_sgpr_workgroup_info 0
		.amdhsa_system_vgpr_workitem_id 0
		.amdhsa_next_free_vgpr 130
		.amdhsa_next_free_sgpr 40
		.amdhsa_reserve_vcc 1
		.amdhsa_float_round_mode_32 0
		.amdhsa_float_round_mode_16_64 0
		.amdhsa_float_denorm_mode_32 3
		.amdhsa_float_denorm_mode_16_64 3
		.amdhsa_fp16_overflow 0
		.amdhsa_workgroup_processor_mode 1
		.amdhsa_memory_ordered 1
		.amdhsa_forward_progress 0
		.amdhsa_round_robin_scheduling 0
		.amdhsa_exception_fp_ieee_invalid_op 0
		.amdhsa_exception_fp_denorm_src 0
		.amdhsa_exception_fp_ieee_div_zero 0
		.amdhsa_exception_fp_ieee_overflow 0
		.amdhsa_exception_fp_ieee_underflow 0
		.amdhsa_exception_fp_ieee_inexact 0
		.amdhsa_exception_int_div_zero 0
	.end_amdhsa_kernel
	.text
.Lfunc_end0:
	.size	fft_rtc_back_len1694_factors_11_2_11_7_wgs_154_tpt_154_halfLds_dp_ip_CI_sbrr_dirReg, .Lfunc_end0-fft_rtc_back_len1694_factors_11_2_11_7_wgs_154_tpt_154_halfLds_dp_ip_CI_sbrr_dirReg
                                        ; -- End function
	.section	.AMDGPU.csdata,"",@progbits
; Kernel info:
; codeLenInByte = 11404
; NumSgprs: 42
; NumVgprs: 130
; ScratchSize: 0
; MemoryBound: 1
; FloatMode: 240
; IeeeMode: 1
; LDSByteSize: 0 bytes/workgroup (compile time only)
; SGPRBlocks: 5
; VGPRBlocks: 16
; NumSGPRsForWavesPerEU: 42
; NumVGPRsForWavesPerEU: 130
; Occupancy: 10
; WaveLimiterHint : 1
; COMPUTE_PGM_RSRC2:SCRATCH_EN: 0
; COMPUTE_PGM_RSRC2:USER_SGPR: 2
; COMPUTE_PGM_RSRC2:TRAP_HANDLER: 0
; COMPUTE_PGM_RSRC2:TGID_X_EN: 1
; COMPUTE_PGM_RSRC2:TGID_Y_EN: 0
; COMPUTE_PGM_RSRC2:TGID_Z_EN: 0
; COMPUTE_PGM_RSRC2:TIDIG_COMP_CNT: 0
	.text
	.p2alignl 7, 3214868480
	.fill 96, 4, 3214868480
	.type	__hip_cuid_6449000cd7236c0c,@object ; @__hip_cuid_6449000cd7236c0c
	.section	.bss,"aw",@nobits
	.globl	__hip_cuid_6449000cd7236c0c
__hip_cuid_6449000cd7236c0c:
	.byte	0                               ; 0x0
	.size	__hip_cuid_6449000cd7236c0c, 1

	.ident	"AMD clang version 19.0.0git (https://github.com/RadeonOpenCompute/llvm-project roc-6.4.0 25133 c7fe45cf4b819c5991fe208aaa96edf142730f1d)"
	.section	".note.GNU-stack","",@progbits
	.addrsig
	.addrsig_sym __hip_cuid_6449000cd7236c0c
	.amdgpu_metadata
---
amdhsa.kernels:
  - .args:
      - .actual_access:  read_only
        .address_space:  global
        .offset:         0
        .size:           8
        .value_kind:     global_buffer
      - .offset:         8
        .size:           8
        .value_kind:     by_value
      - .actual_access:  read_only
        .address_space:  global
        .offset:         16
        .size:           8
        .value_kind:     global_buffer
      - .actual_access:  read_only
        .address_space:  global
        .offset:         24
        .size:           8
        .value_kind:     global_buffer
      - .offset:         32
        .size:           8
        .value_kind:     by_value
      - .actual_access:  read_only
        .address_space:  global
        .offset:         40
        .size:           8
        .value_kind:     global_buffer
      - .actual_access:  read_only
        .address_space:  global
        .offset:         48
        .size:           8
        .value_kind:     global_buffer
      - .offset:         56
        .size:           4
        .value_kind:     by_value
      - .actual_access:  read_only
        .address_space:  global
        .offset:         64
        .size:           8
        .value_kind:     global_buffer
      - .actual_access:  read_only
        .address_space:  global
        .offset:         72
        .size:           8
        .value_kind:     global_buffer
      - .address_space:  global
        .offset:         80
        .size:           8
        .value_kind:     global_buffer
    .group_segment_fixed_size: 0
    .kernarg_segment_align: 8
    .kernarg_segment_size: 88
    .language:       OpenCL C
    .language_version:
      - 2
      - 0
    .max_flat_workgroup_size: 154
    .name:           fft_rtc_back_len1694_factors_11_2_11_7_wgs_154_tpt_154_halfLds_dp_ip_CI_sbrr_dirReg
    .private_segment_fixed_size: 0
    .sgpr_count:     42
    .sgpr_spill_count: 0
    .symbol:         fft_rtc_back_len1694_factors_11_2_11_7_wgs_154_tpt_154_halfLds_dp_ip_CI_sbrr_dirReg.kd
    .uniform_work_group_size: 1
    .uses_dynamic_stack: false
    .vgpr_count:     130
    .vgpr_spill_count: 0
    .wavefront_size: 32
    .workgroup_processor_mode: 1
amdhsa.target:   amdgcn-amd-amdhsa--gfx1201
amdhsa.version:
  - 1
  - 2
...

	.end_amdgpu_metadata
